;; amdgpu-corpus repo=ROCm/aiter kind=harvested arch=n/a opt=n/a

/root/src/amdgpu-assembly/repos/ROCm__aiter/hsa/gfx950/mla/mla_a8w8_qh16_qseqlen4_gqaratio16_v3_ps.co:	file format elf64-amdgpu

Disassembly of section .text:

0000000000002300 <_ZN5aiter39mla_a8w8_qh16_qseqlen4_gqaratio16_v3_psE>:
	s_and_b32 s1, s1, 0xffff                                   // 000000002300: 8601FF01 0000FFFF
	s_load_dwordx2 s[28:29], s[0:1], 0xe0                      // 000000002308: C0060700 000000E0
	v_lshrrev_b32_e32 v1, 10, v0                               // 000000002310: 2002008A
	v_lshrrev_b32_e32 v2, 10, v1                               // 000000002314: 2004028A
	v_and_b32_e32 v2, 0x3ff, v2                                // 000000002318: 260404FF 000003FF
	v_and_b32_e32 v1, 0x3ff, v1                                // 000000002320: 260202FF 000003FF
	v_and_b32_e32 v0, 0x3ff, v0                                // 000000002328: 260000FF 000003FF
	v_lshrrev_b32_e32 v3, 6, v0                                // 000000002330: 20060086
	v_and_b32_e32 v0, 63, v0                                   // 000000002334: 260000BF
	s_mov_b32 s2, s2                                           // 000000002338: BE820002
	s_mov_b32 s3, s3                                           // 00000000233C: BE830003
	s_mov_b32 s4, s4                                           // 000000002340: BE840004
	v_readfirstlane_b32 s7, v3                                 // 000000002344: 7E0E0503
	s_waitcnt lgkmcnt(0)                                       // 000000002348: BF8CC07F
	s_and_b32 s29, s29, 0xffff                                 // 00000000234C: 861DFF1D 0000FFFF
	s_load_dwordx2 s[32:33], s[28:29], 0x0                     // 000000002354: C006080E 00000000
	s_load_dwordx2 s[30:31], s[28:29], 0x8                     // 00000000235C: C006078E 00000008
	s_waitcnt lgkmcnt(0)                                       // 000000002364: BF8CC07F
	s_mul_i32 s56, s2, 4                                       // 000000002368: 92388402
	s_and_b32 s33, s33, 0xffff                                 // 00000000236C: 8621FF21 0000FFFF
	s_add_u32 s32, s56, s32                                    // 000000002374: 80202038
	s_addc_u32 s33, 0, s33                                     // 000000002378: 82212180
	s_load_dword s85, s[32:33], 0x0                            // 00000000237C: C0021550 00000000
	s_load_dword s86, s[32:33], 0x4                            // 000000002384: C0021590 00000004
	s_and_b32 s31, s31, 0xffff                                 // 00000000238C: 861FFF1F 0000FFFF
	s_waitcnt lgkmcnt(0)                                       // 000000002394: BF8CC07F
	s_cmp_eq_i32 s85, s86                                      // 000000002398: BF005655
	s_cbranch_scc1 label_ADB4                                  // 00000000239C: BF852B45
	s_mul_i32 s56, s85, 32                                     // 0000000023A0: 9238A055

00000000000023a4 <label_00A4>:
	s_waitcnt vmcnt(0) expcnt(0) lgkmcnt(0)                    // 0000000023A4: BF8C0000
	s_barrier                                                  // 0000000023A8: BF8A0000
	s_add_u32 s30, s56, s30                                    // 0000000023AC: 801E1E38
	s_addc_u32 s31, 0, s31                                     // 0000000023B0: 821F1F80
	s_load_dword s87, s[30:31], 0x4                            // 0000000023B4: C00215CF 00000004
	s_load_dword s79, s[30:31], 0x8                            // 0000000023BC: C00213CF 00000008
	s_load_dword s78, s[30:31], 0xc                            // 0000000023C4: C002138F 0000000C
	s_load_dword s47, s[30:31], 0x10                           // 0000000023CC: C0020BCF 00000010
	s_load_dword s46, s[30:31], 0x14                           // 0000000023D4: C0020B8F 00000014
	s_load_dword s77, s[30:31], 0x18                           // 0000000023DC: C002134F 00000018
	s_load_dwordx2 s[8:9], s[0:1], 0x0                         // 0000000023E4: C0060200 00000000
	s_load_dwordx2 s[12:13], s[0:1], 0x10                      // 0000000023EC: C0060300 00000010
	s_load_dwordx2 s[16:17], s[0:1], 0x20                      // 0000000023F4: C0060400 00000020
	s_load_dwordx2 s[20:21], s[0:1], 0x30                      // 0000000023FC: C0060500 00000030
	s_load_dwordx2 s[24:25], s[0:1], 0x50                      // 000000002404: C0060600 00000050
	s_load_dword s64, s[0:1], 0x70                             // 00000000240C: C0021000 00000070
	s_load_dword s65, s[0:1], 0x80                             // 000000002414: C0021040 00000080
	s_load_dword s67, s[0:1], 0x90                             // 00000000241C: C00210C0 00000090
	s_load_dword s66, s[0:1], 0xa0                             // 000000002424: C0021080 000000A0
	s_load_dword s68, s[0:1], 0xb0                             // 00000000242C: C0021100 000000B0
	s_load_dword s69, s[0:1], 0xc0                             // 000000002434: C0021140 000000C0
	s_load_dwordx2 s[88:89], s[0:1], 0xf0                      // 00000000243C: C0061600 000000F0
	s_load_dwordx2 s[40:41], s[0:1], 0x100                     // 000000002444: C0060A00 00000100
	s_load_dwordx2 s[42:43], s[0:1], 0x110                     // 00000000244C: C0060A80 00000110
	s_waitcnt lgkmcnt(0)                                       // 000000002454: BF8CC07F
	s_sub_u32 s81, s78, s79                                    // 000000002458: 80D14F4E
	s_mul_i32 s74, 0x240, s65                                  // 00000000245C: 924A41FF 00000240
	s_mul_i32 s56, 4, s65                                      // 000000002464: 92384184
	s_mov_b32 s10, s75                                         // 000000002468: BE8A004B
	s_mov_b32 s18, s74                                         // 00000000246C: BE92004A
	s_mov_b32 s14, s56                                         // 000000002470: BE8E0038
	s_mov_b32 s22, -16                                         // 000000002474: BE9600D0
	s_mov_b32 s26, -16                                         // 000000002478: BE9A00D0
	s_mov_b32 s11, 0x20000                                     // 00000000247C: BE8B00FF 00020000
	s_mov_b32 s91, 0x20000                                     // 000000002484: BEDB00FF 00020000
	s_mov_b32 s19, 0x20000                                     // 00000000248C: BE9300FF 00020000
	s_mov_b32 s15, 0x20000                                     // 000000002494: BE8F00FF 00020000
	s_mov_b32 s23, 0x20000                                     // 00000000249C: BE9700FF 00020000
	s_mov_b32 s27, 0x20000                                     // 0000000024A4: BE9B00FF 00020000
	s_and_b32 s9, s9, 0xffff                                   // 0000000024AC: 8609FF09 0000FFFF
	s_and_b32 s89, s89, 0xffff                                 // 0000000024B4: 8659FF59 0000FFFF
	s_and_b32 s17, s17, 0xffff                                 // 0000000024BC: 8611FF11 0000FFFF
	s_and_b32 s13, s13, 0xffff                                 // 0000000024C4: 860DFF0D 0000FFFF
	s_and_b32 s21, s21, 0xffff                                 // 0000000024CC: 8615FF15 0000FFFF
	s_and_b32 s25, s25, 0xffff                                 // 0000000024D4: 8619FF19 0000FFFF
	s_and_b32 s41, s41, 0xffff                                 // 0000000024DC: 8629FF29 0000FFFF
	s_and_b32 s43, s43, 0xffff                                 // 0000000024E4: 862BFF2B 0000FFFF
	s_or_b32 s9, s9, 0x40000                                   // 0000000024EC: 8709FF09 00040000
	s_or_b32 s89, s89, 0x40000                                 // 0000000024F4: 8759FF59 00040000
	s_or_b32 s17, s17, 0x40000                                 // 0000000024FC: 8711FF11 00040000
	s_or_b32 s13, s13, 0x40000                                 // 000000002504: 870DFF0D 00040000
	s_or_b32 s21, s21, 0x40000                                 // 00000000250C: 8715FF15 00040000
	s_or_b32 s25, s25, 0x40000                                 // 000000002514: 8719FF19 00040000
	s_mov_b32 s67, 1                                           // 00000000251C: BEC30081
	s_mov_b32 s80, 0                                           // 000000002520: BED00080
	s_waitcnt lgkmcnt(0)                                       // 000000002524: BF8CC07F
	s_load_dword s60, s[40:41], 0x0                            // 000000002528: C0020F14 00000000
	s_load_dword s61, s[42:43], 0x0                            // 000000002530: C0020F55 00000000
	s_mov_b32 s69, 0                                           // 000000002538: BEC50080
	s_lshr_b32 s44, 64, s69                                    // 00000000253C: 8F2C45C0
	s_mul_i32 s73, s44, 4                                      // 000000002540: 9249842C
	s_mul_i32 s73, s73, s67                                    // 000000002544: 92494349
	s_mul_i32 s45, s4, s44                                     // 000000002548: 922D2C04
	s_sub_u32 s50, s46, s47                                    // 00000000254C: 80B22F2E
	s_sub_i32 s82, s50, s81                                    // 000000002550: 81D25132
	s_mov_b32 s56, s77                                         // 000000002554: BEB8004D
	s_add_u32 s82, s56, s82                                    // 000000002558: 80525238
	s_mov_b32 s84, 64                                          // 00000000255C: BED400C0
	s_cmp_le_u32 s50, s45                                      // 000000002560: BF0B2D32
	s_cbranch_scc1 label_ADB4                                  // 000000002564: BF852AD3
	s_mul_i32 s56, s50, 4                                      // 000000002568: 92388432
	s_mov_b32 s26, s56                                         // 00000000256C: BE9A0038
	s_mul_i32 s56, s47, 4                                      // 000000002570: 9238842F
	s_add_u32 s24, s56, s24                                    // 000000002574: 80181838
	s_addc_u32 s25, 0, s25                                     // 000000002578: 82191980
	s_mov_b32 s70, 0                                           // 00000000257C: BEC60080
	s_sub_u32 s71, s50, s45                                    // 000000002580: 80C72D32
	s_mul_i32 s37, s67, s44                                    // 000000002584: 92252C43
	s_mov_b32 s36, s71                                         // 000000002588: BEA40047
	v_cvt_f32_u32_e32 v35, s37                                 // 00000000258C: 7E460C25
	s_sub_i32 s56, 0, s37                                      // 000000002590: 81B82580
	v_rcp_iflag_f32_e32 v35, v35                               // 000000002594: 7E464723
	s_nop 0                                                    // 000000002598: BF800000
	v_mul_f32_e32 v35, 0x4f7ffffe, v35                         // 00000000259C: 0A4646FF 4F7FFFFE
	v_cvt_u32_f32_e32 v35, v35                                 // 0000000025A4: 7E460F23
	v_mul_lo_u32 v36, s56, v35                                 // 0000000025A8: D2850024 00024638
	v_mul_hi_u32 v36, v35, v36                                 // 0000000025B0: D2860024 00024923
	v_add_u32_e32 v35, v35, v36                                // 0000000025B8: 68464923
	v_mul_hi_u32 v35, s36, v35                                 // 0000000025BC: D2860023 00024624
	v_mul_lo_u32 v36, v35, s37                                 // 0000000025C4: D2850024 00004B23
	v_sub_u32_e32 v38, s36, v36                                // 0000000025CC: 6A4C4824
	v_add_u32_e32 v37, 1, v35                                  // 0000000025D0: 684A4681
	v_cmp_le_u32_e32 vcc, s37, v38                             // 0000000025D4: 7D964C25
	v_subrev_u32_e32 v36, s37, v38                             // 0000000025D8: 6C484C25
	s_nop 0                                                    // 0000000025DC: BF800000
	v_cndmask_b32_e32 v35, v35, v37, vcc                       // 0000000025E0: 00464B23
	v_cndmask_b32_e32 v38, v38, v36, vcc                       // 0000000025E4: 004C4926
	v_add_u32_e32 v36, 1, v35                                  // 0000000025E8: 68484681
	v_cmp_le_u32_e32 vcc, s37, v38                             // 0000000025EC: 7D964C25
	s_nop 1                                                    // 0000000025F0: BF800001
	v_cndmask_b32_e32 v38, v35, v36, vcc                       // 0000000025F4: 004C4923
	s_nop 3                                                    // 0000000025F8: BF800003
	v_readfirstlane_b32 s38, v38                               // 0000000025FC: 7E4C0526
	s_nop 3                                                    // 000000002600: BF800003
	s_mov_b32 s71, s38                                         // 000000002604: BEC70026
	s_mul_i32 s56, s71, s37                                    // 000000002608: 92382547
	s_sub_u32 s56, s36, s56                                    // 00000000260C: 80B83824
	s_mov_b32 s57, 0                                           // 000000002610: BEB90080
	s_cmp_lt_u32 s56, s44                                      // 000000002614: BF0A2C38
	s_cselect_b32 s57, s57, 1                                  // 000000002618: 85398139
	s_add_u32 s71, s57, s71                                    // 00000000261C: 80474739
	s_cmpk_eq_u32 s57, 0x1                                     // 000000002620: B4390001
	s_cselect_b32 s49, 0, s56                                  // 000000002624: 85313880
	s_mov_b32 s48, s49                                         // 000000002628: BEB00031
	v_lshrrev_b32_e32 v35, 2, v0                               // 00000000262C: 20460082
	s_mul_i32 s56, s7, 16                                      // 000000002630: 92389007
	v_add_u32_e64 v34, v35, s56                                // 000000002634: D1340022 00007123
	v_add_u32_e32 v34, s45, v34                                // 00000000263C: 6844442D
	v_lshlrev_b32_e32 v34, 2, v34                              // 000000002640: 24444482
	buffer_load_dword v30, v34, s[24:27], 0 offen              // 000000002644: E0501000 80061E22
	v_add_u32_e32 v34, s73, v34                                // 00000000264C: 68444449
	buffer_load_dword v31, v34, s[24:27], 0 offen              // 000000002650: E0501000 80061F22
	v_add_u32_e32 v34, s73, v34                                // 000000002658: 68444449
	s_mul_i32 s56, 0x240, 16                                   // 00000000265C: 923890FF 00000240
	s_mul_i32 s56, s79, s56                                    // 000000002664: 9238384F
	s_add_u32 s16, s56, s16                                    // 000000002668: 80101038
	s_addc_u32 s17, 0, s17                                     // 00000000266C: 82111180
	s_mul_i32 s56, s7, 0x400                                   // 000000002670: 9238FF07 00000400
	s_add_u32 m0, 0x2000, s56                                  // 000000002678: 807C38FF 00002000
	v_and_b32_e32 v35, 3, v0                                   // 000000002680: 26460083
	v_mov_b32_e32 v36, 0                                       // 000000002684: 7E480280
	s_mov_b32 s56, 0                                           // 000000002688: BEB80080
	s_mov_b32 s57, -1                                          // 00000000268C: BEB900C1
	v_cndmask_b32_e64 v37, v36, v35, s[56:57]                  // 000000002690: D1000025 00E24724
	s_nop 2                                                    // 000000002698: BF800002
	v_mov_b32_dpp v37, v37 quad_perm:[2,3,0,1] row_mask:0xf bank_mask:0xf// 00000000269C: 7E4A02FA FF004E25
	v_cndmask_b32_e64 v38, v35, v37, s[56:57]                  // 0000000026A4: D1000026 00E24B23
	v_lshlrev_b32_e32 v38, 4, v38                              // 0000000026AC: 244C4C84
	v_mov_b32_e32 v1, v38                                      // 0000000026B0: 7E020326
	v_lshrrev_b32_e32 v35, 2, v0                               // 0000000026B4: 20460082
	s_mov_b32 s56, 0x240                                       // 0000000026B8: BEB800FF 00000240
	v_mul_i32_i24_e64 v35, v35, s56                            // 0000000026C0: D1060023 00007123
	s_mul_i32 s56, s7, 64                                      // 0000000026C8: 9238C007
	v_add_u32_e32 v36, v35, v38                                // 0000000026CC: 68484D23
	v_add_u32_e64 v36, v36, s56                                // 0000000026D0: D1340024 00007124
	buffer_load_dwordx4 v36, s[16:19], 0 offen lds             // 0000000026D8: E05D1000 80040024
	s_add_u32 m0, m0, 0x1000                                   // 0000000026E0: 807CFF7C 00001000
	v_add_u32_e32 v36, 0x100, v36                              // 0000000026E8: 684848FF 00000100
	buffer_load_dwordx4 v36, s[16:19], 0 offen lds             // 0000000026F0: E05D1000 80040024
	s_add_u32 m0, m0, 0x1000                                   // 0000000026F8: 807CFF7C 00001000
	v_add_u32_e32 v36, 0x100, v36                              // 000000002700: 684848FF 00000100
	buffer_load_dwordx4 v36, s[16:19], 0 offen lds             // 000000002708: E05D1000 80040024
	s_add_u32 m0, m0, 0x1000                                   // 000000002710: 807CFF7C 00001000
	v_add_u32_e32 v36, 0x100, v36                              // 000000002718: 684848FF 00000100
	v_add_u32_e32 v36, 0x2100, v36                             // 000000002720: 684848FF 00002100
	buffer_load_dwordx4 v36, s[16:19], 0 offen lds             // 000000002728: E05D1000 80040024
	s_add_u32 m0, m0, 0x1000                                   // 000000002730: 807CFF7C 00001000
	v_add_u32_e32 v36, 0x100, v36                              // 000000002738: 684848FF 00000100
	buffer_load_dwordx4 v36, s[16:19], 0 offen lds             // 000000002740: E05D1000 80040024
	s_add_u32 m0, m0, 0x1000                                   // 000000002748: 807CFF7C 00001000
	v_add_u32_e32 v36, 0x100, v36                              // 000000002750: 684848FF 00000100
	;; [unrolled: 3-line block ×3, first 2 shown]
	v_add_u32_e32 v36, 0x2100, v36                             // 000000002770: 684848FF 00002100
	buffer_load_dwordx4 v36, s[16:19], 0 offen lds             // 000000002778: E05D1000 80040024
	s_add_u32 m0, m0, 0x1000                                   // 000000002780: 807CFF7C 00001000
	v_add_u32_e32 v36, 0x100, v36                              // 000000002788: 684848FF 00000100
	buffer_load_dwordx4 v36, s[16:19], 0 offen lds             // 000000002790: E05D1000 80040024
	s_add_u32 m0, m0, 0x1000                                   // 000000002798: 807CFF7C 00001000
	v_add_u32_e32 v36, 0x100, v36                              // 0000000027A0: 684848FF 00000100
	buffer_load_dwordx4 v36, s[16:19], 0 offen lds             // 0000000027A8: E05D1000 80040024
	s_add_u32 m0, m0, 0x1000                                   // 0000000027B0: 807CFF7C 00001000
	v_add_u32_e32 v36, 0x100, v36                              // 0000000027B8: 684848FF 00000100
	v_add_u32_e32 v36, 0x2100, v36                             // 0000000027C0: 684848FF 00002100
	buffer_load_dwordx4 v36, s[16:19], 0 offen lds             // 0000000027C8: E05D1000 80040024
	s_add_u32 m0, m0, 0x1000                                   // 0000000027D0: 807CFF7C 00001000
	v_add_u32_e32 v36, 0x100, v36                              // 0000000027D8: 684848FF 00000100
	buffer_load_dwordx4 v36, s[16:19], 0 offen lds             // 0000000027E0: E05D1000 80040024
	s_add_u32 m0, m0, 0x1000                                   // 0000000027E8: 807CFF7C 00001000
	v_add_u32_e32 v36, 0x100, v36                              // 0000000027F0: 684848FF 00000100
	buffer_load_dwordx4 v36, s[16:19], 0 offen lds             // 0000000027F8: E05D1000 80040024
	s_add_u32 m0, m0, 0x1000                                   // 000000002800: 807CFF7C 00001000
	v_add_u32_e32 v36, 0x100, v36                              // 000000002808: 684848FF 00000100
	v_add_u32_e32 v36, 0x2100, v36                             // 000000002810: 684848FF 00002100
	s_mov_b32 s52, 0x7060302                                   // 000000002818: BEB400FF 07060302
	s_mov_b32 s53, 0x5040100                                   // 000000002820: BEB500FF 05040100
	s_mul_i32 s51, s7, 4                                       // 000000002828: 92338407
	s_mov_b32 s6, 0x3fb8aa3b                                   // 00000000282C: BE8600FF 3FB8AA3B
	v_mov_b32_e32 v36, s6                                      // 000000002834: 7E480206
	v_mov_b32_e32 v35, s64                                     // 000000002838: 7E460240
	v_mul_f32_e32 v35, s6, v35                                 // 00000000283C: 0A464606
	v_rcp_f32_e32 v36, v36                                     // 000000002840: 7E484524
	v_mov_b32_e32 v2, 0xff800000                               // 000000002844: 7E0402FF FF800000
	v_mov_b32_e32 v21, 0                                       // 00000000284C: 7E2A0280
	v_mov_b32_e32 v4, 0                                        // 000000002850: 7E080280
	v_readfirstlane_b32 s5, v35                                // 000000002854: 7E0A0523
	v_readfirstlane_b32 s63, v36                               // 000000002858: 7E7E0524
	s_waitcnt lgkmcnt(0)                                       // 00000000285C: BF8CC07F
	v_mov_b32_e32 v35, s60                                     // 000000002860: 7E46023C
	v_mul_f32_e32 v35, s61, v35                                // 000000002864: 0A46463D
	v_mul_f32_e32 v36, s5, v35                                 // 000000002868: 0A484605
	v_mul_f32_e32 v38, s64, v35                                // 00000000286C: 0A4C4640
	v_readfirstlane_b32 s5, v36                                // 000000002870: 7E0A0524
	v_readfirstlane_b32 s64, v38                               // 000000002874: 7E800526
	v_and_b32_e32 v35, 15, v0                                  // 000000002878: 2646008F
	v_lshlrev_b32_e32 v35, 4, v35                              // 00000000287C: 24464684
	v_and_b32_e32 v36, 31, v0                                  // 000000002880: 2648009F
	v_lshrrev_b32_e32 v36, 4, v36                              // 000000002884: 20484884
	s_mov_b32 s56, 0xc00                                       // 000000002888: BEB800FF 00000C00
	v_mul_i32_i24_e32 v36, s56, v36                            // 000000002890: 0C484838
	v_add_u32_e32 v222, v35, v36                               // 000000002894: 69BC4923
	v_mov_b32_e32 v223, v222                                   // 000000002898: 7FBE03DE
	v_and_b32_e32 v35, 15, v0                                  // 00000000289C: 2646008F
	v_lshrrev_b32_e32 v35, 3, v35                              // 0000000028A0: 20464683
	v_lshlrev_b32_e32 v35, 3, v35                              // 0000000028A4: 24464683
	v_lshrrev_b32_e32 v36, 5, v0                               // 0000000028A8: 20480085
	v_lshlrev_b32_e32 v36, 2, v36                              // 0000000028AC: 24484882
	v_add_u32_e32 v222, v222, v35                              // 0000000028B0: 69BC47DE
	v_add_u32_e32 v222, v222, v36                              // 0000000028B4: 69BC49DE
	v_and_b32_e32 v35, 15, v0                                  // 0000000028B8: 2646008F
	v_lshrrev_b32_e32 v35, 3, v35                              // 0000000028BC: 20464683
	s_mov_b32 s56, 1                                           // 0000000028C0: BEB80081
	v_mov_b32_e32 v36, s56                                     // 0000000028C4: 7E480238
	v_xor_b32_e32 v35, v36, v35                                // 0000000028C8: 2A464724
	v_lshlrev_b32_e32 v35, 3, v35                              // 0000000028CC: 24464683
	v_lshrrev_b32_e32 v36, 5, v0                               // 0000000028D0: 20480085
	v_lshlrev_b32_e32 v36, 2, v36                              // 0000000028D4: 24484882
	v_add_u32_e32 v223, v223, v35                              // 0000000028D8: 69BE47DF
	v_add_u32_e32 v223, v223, v36                              // 0000000028DC: 69BE49DF
	s_mov_b32 s56, 0                                           // 0000000028E0: BEB80080
	v_lshlrev_b32_e32 v222, 2, v222                            // 0000000028E4: 25BDBC82
	v_lshlrev_b32_e32 v223, 2, v223                            // 0000000028E8: 25BFBE82
	s_lshr_b32 s57, s7, 1                                      // 0000000028EC: 8F398107
	s_mul_i32 s56, s57, 0x6000                                 // 0000000028F0: 9238FF39 00006000
	v_add_u32_e32 v222, s56, v222                              // 0000000028F8: 69BDBC38
	v_add_u32_e32 v223, s56, v223                              // 0000000028FC: 69BFBE38
	s_waitcnt vmcnt(0)                                         // 000000002900: BF8C0F70
	s_barrier                                                  // 000000002904: BF8A0000
	ds_read_b128 a[0:3], v222 offset:8192                      // 000000002908: DBFE2000 000000DE
	ds_read_b128 a[8:11], v222 offset:9216                     // 000000002910: DBFE2400 080000DE
	ds_read_b128 a[16:19], v222 offset:10240                   // 000000002918: DBFE2800 100000DE
	ds_read_b128 a[24:27], v222 offset:11264                   // 000000002920: DBFE2C00 180000DE
	ds_read_b128 a[32:35], v222 offset:12288                   // 000000002928: DBFE3000 200000DE
	ds_read_b128 a[40:43], v222 offset:13312                   // 000000002930: DBFE3400 280000DE
	ds_read_b128 a[48:51], v222 offset:14336                   // 000000002938: DBFE3800 300000DE
	ds_read_b128 a[56:59], v222 offset:15360                   // 000000002940: DBFE3C00 380000DE
	ds_read_b128 a[64:67], v222 offset:16384                   // 000000002948: DBFE4000 400000DE
	ds_read_b128 a[4:7], v223 offset:8192                      // 000000002950: DBFE2000 040000DF
	ds_read_b128 a[12:15], v223 offset:9216                    // 000000002958: DBFE2400 0C0000DF
	ds_read_b128 a[20:23], v223 offset:10240                   // 000000002960: DBFE2800 140000DF
	ds_read_b128 a[28:31], v223 offset:11264                   // 000000002968: DBFE2C00 1C0000DF
	ds_read_b128 a[36:39], v223 offset:12288                   // 000000002970: DBFE3000 240000DF
	ds_read_b128 a[44:47], v223 offset:13312                   // 000000002978: DBFE3400 2C0000DF
	ds_read_b128 a[52:55], v223 offset:14336                   // 000000002980: DBFE3800 340000DF
	ds_read_b128 a[60:63], v223 offset:15360                   // 000000002988: DBFE3C00 3C0000DF
	ds_read_b128 a[68:71], v223 offset:16384                   // 000000002990: DBFE4000 440000DF
	v_lshlrev_b32_e32 v35, 2, v0                               // 000000002998: 24460082
	s_mov_b32 s56, 0x200                                       // 00000000299C: BEB800FF 00000200
	s_lshr_b32 s57, s7, 1                                      // 0000000029A4: 8F398107
	s_mul_i32 s56, s57, s56                                    // 0000000029A8: 92383839
	v_add_u32_e32 v40, s56, v35                                // 0000000029AC: 68504638
	v_lshlrev_b32_e32 v35, 2, v0                               // 0000000029B0: 24460082
	s_mov_b32 s56, 0x100                                       // 0000000029B4: BEB800FF 00000100
	s_mul_i32 s56, s7, s56                                     // 0000000029BC: 92383807
	v_add_u32_e32 v41, s56, v35                                // 0000000029C0: 68524638
	v_lshlrev_b32_e32 v35, 4, v0                               // 0000000029C4: 24460084
	s_mov_b32 s56, 0x800                                       // 0000000029C8: BEB800FF 00000800
	s_lshr_b32 s57, s7, 1                                      // 0000000029D0: 8F398107
	s_mul_i32 s56, s57, s56                                    // 0000000029D4: 92383839
	v_add_u32_e32 v42, s56, v35                                // 0000000029D8: 68544638
	v_lshlrev_b32_e32 v35, 4, v0                               // 0000000029DC: 24460084
	s_mov_b32 s56, 0x400                                       // 0000000029E0: BEB800FF 00000400
	s_mul_i32 s56, s7, s56                                     // 0000000029E8: 92383807
	v_add_u32_e32 v43, s56, v35                                // 0000000029EC: 68564638
	v_mov_b32_e32 v76, 0                                       // 0000000029F0: 7E980280
	v_mov_b32_e32 v77, 0                                       // 0000000029F4: 7E9A0280
	v_mov_b32_e32 v78, 0                                       // 0000000029F8: 7E9C0280
	v_mov_b32_e32 v79, 0                                       // 0000000029FC: 7E9E0280
	v_mov_b32_e32 v80, 0                                       // 000000002A00: 7EA00280
	v_mov_b32_e32 v81, 0                                       // 000000002A04: 7EA20280
	v_mov_b32_e32 v82, 0                                       // 000000002A08: 7EA40280
	v_mov_b32_e32 v83, 0                                       // 000000002A0C: 7EA60280
	v_mov_b32_e32 v84, 0                                       // 000000002A10: 7EA80280
	v_mov_b32_e32 v85, 0                                       // 000000002A14: 7EAA0280
	v_mov_b32_e32 v86, 0                                       // 000000002A18: 7EAC0280
	v_mov_b32_e32 v87, 0                                       // 000000002A1C: 7EAE0280
	v_mov_b32_e32 v88, 0                                       // 000000002A20: 7EB00280
	v_mov_b32_e32 v89, 0                                       // 000000002A24: 7EB20280
	v_mov_b32_e32 v90, 0                                       // 000000002A28: 7EB40280
	v_mov_b32_e32 v91, 0                                       // 000000002A2C: 7EB60280
	v_mov_b32_e32 v92, 0                                       // 000000002A30: 7EB80280
	v_mov_b32_e32 v93, 0                                       // 000000002A34: 7EBA0280
	v_mov_b32_e32 v94, 0                                       // 000000002A38: 7EBC0280
	v_mov_b32_e32 v95, 0                                       // 000000002A3C: 7EBE0280
	v_mov_b32_e32 v96, 0                                       // 000000002A40: 7EC00280
	v_mov_b32_e32 v97, 0                                       // 000000002A44: 7EC20280
	v_mov_b32_e32 v98, 0                                       // 000000002A48: 7EC40280
	v_mov_b32_e32 v99, 0                                       // 000000002A4C: 7EC60280
	v_mov_b32_e32 v100, 0                                      // 000000002A50: 7EC80280
	v_mov_b32_e32 v101, 0                                      // 000000002A54: 7ECA0280
	v_mov_b32_e32 v102, 0                                      // 000000002A58: 7ECC0280
	v_mov_b32_e32 v103, 0                                      // 000000002A5C: 7ECE0280
	v_mov_b32_e32 v104, 0                                      // 000000002A60: 7ED00280
	v_mov_b32_e32 v105, 0                                      // 000000002A64: 7ED20280
	v_mov_b32_e32 v106, 0                                      // 000000002A68: 7ED40280
	v_mov_b32_e32 v107, 0                                      // 000000002A6C: 7ED60280
	v_mov_b32_e32 v108, 0                                      // 000000002A70: 7ED80280
	v_mov_b32_e32 v109, 0                                      // 000000002A74: 7EDA0280
	v_mov_b32_e32 v110, 0                                      // 000000002A78: 7EDC0280
	v_mov_b32_e32 v111, 0                                      // 000000002A7C: 7EDE0280
	v_mov_b32_e32 v112, 0                                      // 000000002A80: 7EE00280
	v_mov_b32_e32 v113, 0                                      // 000000002A84: 7EE20280
	v_mov_b32_e32 v114, 0                                      // 000000002A88: 7EE40280
	v_mov_b32_e32 v115, 0                                      // 000000002A8C: 7EE60280
	v_mov_b32_e32 v116, 0                                      // 000000002A90: 7EE80280
	v_mov_b32_e32 v117, 0                                      // 000000002A94: 7EEA0280
	v_mov_b32_e32 v118, 0                                      // 000000002A98: 7EEC0280
	v_mov_b32_e32 v119, 0                                      // 000000002A9C: 7EEE0280
	v_mov_b32_e32 v120, 0                                      // 000000002AA0: 7EF00280
	v_mov_b32_e32 v121, 0                                      // 000000002AA4: 7EF20280
	v_mov_b32_e32 v122, 0                                      // 000000002AA8: 7EF40280
	v_mov_b32_e32 v123, 0                                      // 000000002AAC: 7EF60280
	v_mov_b32_e32 v124, 0                                      // 000000002AB0: 7EF80280
	v_mov_b32_e32 v125, 0                                      // 000000002AB4: 7EFA0280
	v_mov_b32_e32 v126, 0                                      // 000000002AB8: 7EFC0280
	v_mov_b32_e32 v127, 0                                      // 000000002ABC: 7EFE0280
	v_mov_b32_e32 v128, 0                                      // 000000002AC0: 7F000280
	v_mov_b32_e32 v129, 0                                      // 000000002AC4: 7F020280
	v_mov_b32_e32 v130, 0                                      // 000000002AC8: 7F040280
	v_mov_b32_e32 v131, 0                                      // 000000002ACC: 7F060280
	v_mov_b32_e32 v132, 0                                      // 000000002AD0: 7F080280
	v_mov_b32_e32 v133, 0                                      // 000000002AD4: 7F0A0280
	v_mov_b32_e32 v134, 0                                      // 000000002AD8: 7F0C0280
	v_mov_b32_e32 v135, 0                                      // 000000002ADC: 7F0E0280
	v_mov_b32_e32 v136, 0                                      // 000000002AE0: 7F100280
	v_mov_b32_e32 v137, 0                                      // 000000002AE4: 7F120280
	v_mov_b32_e32 v138, 0                                      // 000000002AE8: 7F140280
	v_mov_b32_e32 v139, 0                                      // 000000002AEC: 7F160280
	v_mov_b32_e32 v140, 0                                      // 000000002AF0: 7F180280
	v_mov_b32_e32 v141, 0                                      // 000000002AF4: 7F1A0280
	v_mov_b32_e32 v142, 0                                      // 000000002AF8: 7F1C0280
	v_mov_b32_e32 v143, 0                                      // 000000002AFC: 7F1E0280
	v_mov_b32_e32 v144, 0                                      // 000000002B00: 7F200280
	v_mov_b32_e32 v145, 0                                      // 000000002B04: 7F220280
	v_mov_b32_e32 v146, 0                                      // 000000002B08: 7F240280
	v_mov_b32_e32 v147, 0                                      // 000000002B0C: 7F260280
	v_mov_b32_e32 v148, 0                                      // 000000002B10: 7F280280
	v_mov_b32_e32 v149, 0                                      // 000000002B14: 7F2A0280
	v_mov_b32_e32 v150, 0                                      // 000000002B18: 7F2C0280
	v_mov_b32_e32 v151, 0                                      // 000000002B1C: 7F2E0280
	v_mov_b32_e32 v152, 0                                      // 000000002B20: 7F300280
	v_mov_b32_e32 v153, 0                                      // 000000002B24: 7F320280
	v_mov_b32_e32 v154, 0                                      // 000000002B28: 7F340280
	v_mov_b32_e32 v155, 0                                      // 000000002B2C: 7F360280
	v_mov_b32_e32 v156, 0                                      // 000000002B30: 7F380280
	v_mov_b32_e32 v157, 0                                      // 000000002B34: 7F3A0280
	v_mov_b32_e32 v158, 0                                      // 000000002B38: 7F3C0280
	v_mov_b32_e32 v159, 0                                      // 000000002B3C: 7F3E0280
	v_mov_b32_e32 v160, 0                                      // 000000002B40: 7F400280
	v_mov_b32_e32 v161, 0                                      // 000000002B44: 7F420280
	v_mov_b32_e32 v162, 0                                      // 000000002B48: 7F440280
	v_mov_b32_e32 v163, 0                                      // 000000002B4C: 7F460280
	v_mov_b32_e32 v164, 0                                      // 000000002B50: 7F480280
	v_mov_b32_e32 v165, 0                                      // 000000002B54: 7F4A0280
	v_mov_b32_e32 v166, 0                                      // 000000002B58: 7F4C0280
	v_mov_b32_e32 v167, 0                                      // 000000002B5C: 7F4E0280
	v_mov_b32_e32 v168, 0                                      // 000000002B60: 7F500280
	v_mov_b32_e32 v169, 0                                      // 000000002B64: 7F520280
	v_mov_b32_e32 v170, 0                                      // 000000002B68: 7F540280
	v_mov_b32_e32 v171, 0                                      // 000000002B6C: 7F560280
	v_mov_b32_e32 v172, 0                                      // 000000002B70: 7F580280
	v_mov_b32_e32 v173, 0                                      // 000000002B74: 7F5A0280
	v_mov_b32_e32 v174, 0                                      // 000000002B78: 7F5C0280
	v_mov_b32_e32 v175, 0                                      // 000000002B7C: 7F5E0280
	v_mov_b32_e32 v176, 0                                      // 000000002B80: 7F600280
	v_mov_b32_e32 v177, 0                                      // 000000002B84: 7F620280
	v_mov_b32_e32 v178, 0                                      // 000000002B88: 7F640280
	v_mov_b32_e32 v179, 0                                      // 000000002B8C: 7F660280
	v_mov_b32_e32 v180, 0                                      // 000000002B90: 7F680280
	v_mov_b32_e32 v181, 0                                      // 000000002B94: 7F6A0280
	v_mov_b32_e32 v182, 0                                      // 000000002B98: 7F6C0280
	v_mov_b32_e32 v183, 0                                      // 000000002B9C: 7F6E0280
	v_mov_b32_e32 v184, 0                                      // 000000002BA0: 7F700280
	v_mov_b32_e32 v185, 0                                      // 000000002BA4: 7F720280
	v_mov_b32_e32 v186, 0                                      // 000000002BA8: 7F740280
	v_mov_b32_e32 v187, 0                                      // 000000002BAC: 7F760280
	v_mov_b32_e32 v188, 0                                      // 000000002BB0: 7F780280
	v_mov_b32_e32 v189, 0                                      // 000000002BB4: 7F7A0280
	v_mov_b32_e32 v190, 0                                      // 000000002BB8: 7F7C0280
	v_mov_b32_e32 v191, 0                                      // 000000002BBC: 7F7E0280
	v_mov_b32_e32 v192, 0                                      // 000000002BC0: 7F800280
	v_mov_b32_e32 v193, 0                                      // 000000002BC4: 7F820280
	v_mov_b32_e32 v194, 0                                      // 000000002BC8: 7F840280
	v_mov_b32_e32 v195, 0                                      // 000000002BCC: 7F860280
	v_mov_b32_e32 v196, 0                                      // 000000002BD0: 7F880280
	v_mov_b32_e32 v197, 0                                      // 000000002BD4: 7F8A0280
	v_mov_b32_e32 v198, 0                                      // 000000002BD8: 7F8C0280
	v_mov_b32_e32 v199, 0                                      // 000000002BDC: 7F8E0280
	v_mov_b32_e32 v200, 0                                      // 000000002BE0: 7F900280
	v_mov_b32_e32 v201, 0                                      // 000000002BE4: 7F920280
	v_mov_b32_e32 v202, 0                                      // 000000002BE8: 7F940280
	v_mov_b32_e32 v203, 0                                      // 000000002BEC: 7F960280
	s_waitcnt lgkmcnt(0)                                       // 000000002BF0: BF8CC07F
	v_mul_u32_u24_e64 v217, v30, s68                           // 000000002BF4: D10800D9 0000891E
	v_add_u32_e32 v217, v217, v1                               // 000000002BFC: 69B203D9
	s_mov_b32 s56, 0xb000                                      // 000000002C00: BEB800FF 0000B000
	s_mul_i32 s57, s7, 0x2400                                  // 000000002C08: 9239FF07 00002400
	s_add_u32 m0, s56, s57                                     // 000000002C10: 807C3938
	buffer_load_dwordx4 v217, s[20:23], 0 offen lds            // 000000002C14: E05D1000 800500D9
	s_add_i32 m0, m0, 0x3c0                                    // 000000002C1C: 817CFF7C 000003C0
	buffer_load_dwordx4 v217, s[20:23], 0 offen offset:64 lds  // 000000002C24: E05D1040 800500D9
	s_add_i32 m0, m0, 0x3c0                                    // 000000002C2C: 817CFF7C 000003C0
	buffer_load_dwordx4 v217, s[20:23], 0 offen offset:128 lds // 000000002C34: E05D1080 800500D9
	s_add_i32 m0, m0, 0x3c0                                    // 000000002C3C: 817CFF7C 000003C0
	buffer_load_dwordx4 v217, s[20:23], 0 offen offset:192 lds // 000000002C44: E05D10C0 800500D9
	s_add_i32 m0, m0, 0x3c0                                    // 000000002C4C: 817CFF7C 000003C0
	buffer_load_dwordx4 v217, s[20:23], 0 offen offset:256 lds // 000000002C54: E05D1100 800500D9
	s_add_i32 m0, m0, 0x3c0                                    // 000000002C5C: 817CFF7C 000003C0
	buffer_load_dwordx4 v217, s[20:23], 0 offen offset:320 lds // 000000002C64: E05D1140 800500D9
	s_add_i32 m0, m0, 0x3c0                                    // 000000002C6C: 817CFF7C 000003C0
	buffer_load_dwordx4 v217, s[20:23], 0 offen offset:384 lds // 000000002C74: E05D1180 800500D9
	s_add_i32 m0, m0, 0x3c0                                    // 000000002C7C: 817CFF7C 000003C0
	buffer_load_dwordx4 v217, s[20:23], 0 offen offset:448 lds // 000000002C84: E05D11C0 800500D9
	s_add_i32 m0, m0, 0x3c0                                    // 000000002C8C: 817CFF7C 000003C0
	buffer_load_dwordx4 v217, s[20:23], 0 offen offset:512 lds // 000000002C94: E05D1200 800500D9
	s_add_i32 m0, m0, 0x3c0                                    // 000000002C9C: 817CFF7C 000003C0
	buffer_load_dword v32, v34, s[24:27], 0 offen              // 000000002CA4: E0501000 80062022
	v_add_u32_e32 v34, s73, v34                                // 000000002CAC: 68444449
	v_and_b32_e32 v35, 15, v0                                  // 000000002CB0: 2646008F
	v_lshlrev_b32_e32 v35, 4, v35                              // 000000002CB4: 24464684
	v_and_b32_e32 v36, 31, v0                                  // 000000002CB8: 2648009F
	v_lshrrev_b32_e32 v36, 4, v36                              // 000000002CBC: 20484884
	s_mov_b32 s56, 0x900                                       // 000000002CC0: BEB800FF 00000900
	v_mul_i32_i24_e32 v36, s56, v36                            // 000000002CC8: 0C484838
	v_add_u32_e32 v22, v35, v36                                // 000000002CCC: 682C4923
	v_mov_b32_e32 v23, v22                                     // 000000002CD0: 7E2E0316
	v_and_b32_e32 v35, 15, v0                                  // 000000002CD4: 2646008F
	v_lshrrev_b32_e32 v35, 3, v35                              // 000000002CD8: 20464683
	v_lshlrev_b32_e32 v35, 3, v35                              // 000000002CDC: 24464683
	v_lshrrev_b32_e32 v36, 5, v0                               // 000000002CE0: 20480085
	v_lshlrev_b32_e32 v36, 2, v36                              // 000000002CE4: 24484882
	v_add_u32_e32 v22, v22, v35                                // 000000002CE8: 682C4716
	v_add_u32_e32 v22, v22, v36                                // 000000002CEC: 682C4916
	v_and_b32_e32 v35, 15, v0                                  // 000000002CF0: 2646008F
	v_lshrrev_b32_e32 v35, 3, v35                              // 000000002CF4: 20464683
	s_mov_b32 s56, 1                                           // 000000002CF8: BEB80081
	v_mov_b32_e32 v36, s56                                     // 000000002CFC: 7E480238
	v_xor_b32_e32 v35, v36, v35                                // 000000002D00: 2A464724
	v_lshlrev_b32_e32 v35, 3, v35                              // 000000002D04: 24464683
	v_lshrrev_b32_e32 v36, 5, v0                               // 000000002D08: 20480085
	v_lshlrev_b32_e32 v36, 2, v36                              // 000000002D0C: 24484882
	v_add_u32_e32 v23, v23, v35                                // 000000002D10: 682E4717
	v_add_u32_e32 v23, v23, v36                                // 000000002D14: 682E4917
	s_mov_b32 s56, 0                                           // 000000002D18: BEB80080
	v_lshlrev_b32_e32 v22, 2, v22                              // 000000002D1C: 242C2C82
	v_lshlrev_b32_e32 v23, 2, v23                              // 000000002D20: 242E2E82
	s_and_b32 s56, s7, 1                                       // 000000002D24: 86388107
	s_mov_b32 s57, 0x4800                                      // 000000002D28: BEB900FF 00004800
	s_mul_i32 s56, s57, s56                                    // 000000002D30: 92383839
	v_add_u32_e32 v22, s56, v22                                // 000000002D34: 682C2C38
	v_add_u32_e32 v23, s56, v23                                // 000000002D38: 682E2E38
	s_mov_b32 s56, 0x2000                                      // 000000002D3C: BEB800FF 00002000
	v_add_u32_e32 v22, s56, v22                                // 000000002D44: 682C2C38
	v_add_u32_e32 v23, s56, v23                                // 000000002D48: 682E2E38
	s_mov_b32 s57, 0x9000                                      // 000000002D4C: BEB900FF 00009000
	v_add_u32_e32 v24, s57, v22                                // 000000002D54: 68302C39
	v_add_u32_e32 v25, s57, v23                                // 000000002D58: 68322E39
	v_add_u32_e32 v26, s57, v24                                // 000000002D5C: 68343039
	v_add_u32_e32 v27, s57, v25                                // 000000002D60: 68363239
	v_add_u32_e32 v28, s57, v26                                // 000000002D64: 68383439
	v_add_u32_e32 v29, s57, v27                                // 000000002D68: 683A3639
	v_and_b32_e32 v35, 15, v0                                  // 000000002D6C: 2646008F
	v_lshrrev_b32_e32 v35, 1, v35                              // 000000002D70: 20464681
	v_lshlrev_b32_e32 v35, 4, v35                              // 000000002D74: 24464684
	v_and_b32_e32 v36, 1, v0                                   // 000000002D78: 26480081
	v_lshlrev_b32_e32 v36, 1, v36                              // 000000002D7C: 24484881
	v_and_b32_e32 v37, 31, v0                                  // 000000002D80: 264A009F
	v_lshrrev_b32_e32 v37, 4, v37                              // 000000002D84: 204A4A84
	v_lshlrev_b32_e32 v37, 2, v37                              // 000000002D88: 244A4A82
	v_lshrrev_b32_e32 v38, 5, v0                               // 000000002D8C: 204C0085
	s_mov_b32 s56, 0x900                                       // 000000002D90: BEB800FF 00000900
	v_mul_i32_i24_e32 v38, s56, v38                            // 000000002D98: 0C4C4C38
	v_add_u32_e32 v5, v35, v36                                 // 000000002D9C: 680A4923
	v_add_u32_e32 v5, v37, v5                                  // 000000002DA0: 680A0B25
	v_add_u32_e32 v5, v38, v5                                  // 000000002DA4: 680A0B26
	s_mov_b32 s56, 0x88                                        // 000000002DA8: BEB800FF 00000088
	v_add_u32_e32 v6, s56, v5                                  // 000000002DB0: 680C0A38
	s_mov_b32 s56, 8                                           // 000000002DB4: BEB80088
	v_add_u32_e32 v7, s56, v5                                  // 000000002DB8: 680E0A38
	s_mov_b32 s56, 0x80                                        // 000000002DBC: BEB800FF 00000080
	v_add_u32_e32 v8, s56, v5                                  // 000000002DC4: 68100A38
	v_lshlrev_b32_e32 v5, 2, v5                                // 000000002DC8: 240A0A82
	v_lshlrev_b32_e32 v6, 2, v6                                // 000000002DCC: 240C0C82
	v_lshlrev_b32_e32 v7, 2, v7                                // 000000002DD0: 240E0E82
	v_lshlrev_b32_e32 v8, 2, v8                                // 000000002DD4: 24101082
	s_and_b32 s56, s7, 1                                       // 000000002DD8: 86388107
	s_mov_b32 s57, 0x1000                                      // 000000002DDC: BEB900FF 00001000
	s_mul_i32 s56, s56, s57                                    // 000000002DE4: 92383938
	v_add_u32_e32 v5, s56, v5                                  // 000000002DE8: 680A0A38
	v_add_u32_e32 v6, s56, v6                                  // 000000002DEC: 680C0C38
	v_add_u32_e32 v7, s56, v7                                  // 000000002DF0: 680E0E38
	v_add_u32_e32 v8, s56, v8                                  // 000000002DF4: 68101038
	s_mov_b32 s56, 0x2000                                      // 000000002DF8: BEB800FF 00002000
	v_add_u32_e32 v5, s56, v5                                  // 000000002E00: 680A0A38
	v_add_u32_e32 v6, s56, v6                                  // 000000002E04: 680C0C38
	v_add_u32_e32 v7, s56, v7                                  // 000000002E08: 680E0E38
	v_add_u32_e32 v8, s56, v8                                  // 000000002E0C: 68101038
	s_mov_b32 s56, 0x9000                                      // 000000002E10: BEB800FF 00009000
	v_add_u32_e32 v9, s56, v5                                  // 000000002E18: 68120A38
	v_add_u32_e32 v10, s56, v6                                 // 000000002E1C: 68140C38
	v_add_u32_e32 v11, s56, v7                                 // 000000002E20: 68160E38
	v_add_u32_e32 v12, s56, v8                                 // 000000002E24: 68181038
	v_add_u32_e32 v13, s56, v9                                 // 000000002E28: 681A1238
	v_add_u32_e32 v14, s56, v10                                // 000000002E2C: 681C1438
	v_add_u32_e32 v15, s56, v11                                // 000000002E30: 681E1638
	v_add_u32_e32 v16, s56, v12                                // 000000002E34: 68201838
	v_add_u32_e32 v17, s56, v13                                // 000000002E38: 68221A38
	v_add_u32_e32 v18, s56, v14                                // 000000002E3C: 68241C38
	v_add_u32_e32 v19, s56, v15                                // 000000002E40: 68261E38
	v_add_u32_e32 v20, s56, v16                                // 000000002E44: 68282038
	v_mul_u32_u24_e64 v217, v31, s68                           // 000000002E48: D10800D9 0000891F
	v_add_u32_e32 v217, v217, v1                               // 000000002E50: 69B203D9
	s_mov_b32 s56, 0x14000                                     // 000000002E54: BEB800FF 00014000
	s_mul_i32 s57, s7, 0x2400                                  // 000000002E5C: 9239FF07 00002400
	s_add_u32 m0, s56, s57                                     // 000000002E64: 807C3938
	buffer_load_dwordx4 v217, s[20:23], 0 offen lds            // 000000002E68: E05D1000 800500D9
	s_add_i32 m0, m0, 0x3c0                                    // 000000002E70: 817CFF7C 000003C0
	buffer_load_dwordx4 v217, s[20:23], 0 offen offset:64 lds  // 000000002E78: E05D1040 800500D9
	s_add_i32 m0, m0, 0x3c0                                    // 000000002E80: 817CFF7C 000003C0
	buffer_load_dwordx4 v217, s[20:23], 0 offen offset:128 lds // 000000002E88: E05D1080 800500D9
	s_add_i32 m0, m0, 0x3c0                                    // 000000002E90: 817CFF7C 000003C0
	buffer_load_dwordx4 v217, s[20:23], 0 offen offset:192 lds // 000000002E98: E05D10C0 800500D9
	s_add_i32 m0, m0, 0x3c0                                    // 000000002EA0: 817CFF7C 000003C0
	buffer_load_dwordx4 v217, s[20:23], 0 offen offset:256 lds // 000000002EA8: E05D1100 800500D9
	s_add_i32 m0, m0, 0x3c0                                    // 000000002EB0: 817CFF7C 000003C0
	buffer_load_dwordx4 v217, s[20:23], 0 offen offset:320 lds // 000000002EB8: E05D1140 800500D9
	s_add_i32 m0, m0, 0x3c0                                    // 000000002EC0: 817CFF7C 000003C0
	buffer_load_dwordx4 v217, s[20:23], 0 offen offset:384 lds // 000000002EC8: E05D1180 800500D9
	s_add_i32 m0, m0, 0x3c0                                    // 000000002ED0: 817CFF7C 000003C0
	buffer_load_dwordx4 v217, s[20:23], 0 offen offset:448 lds // 000000002ED8: E05D11C0 800500D9
	s_add_i32 m0, m0, 0x3c0                                    // 000000002EE0: 817CFF7C 000003C0
	buffer_load_dwordx4 v217, s[20:23], 0 offen offset:512 lds // 000000002EE8: E05D1200 800500D9
	s_add_i32 m0, m0, 0x3c0                                    // 000000002EF0: 817CFF7C 000003C0
	buffer_load_dword v33, v34, s[24:27], 0 offen              // 000000002EF8: E0501000 80062122
	v_add_u32_e32 v34, s73, v34                                // 000000002F00: 68444449
	s_waitcnt vmcnt(10)                                        // 000000002F04: BF8C0F7A
	s_barrier                                                  // 000000002F08: BF8A0000
	s_waitcnt lgkmcnt(0)                                       // 000000002F0C: BF8CC07F
	ds_read_b128 a[72:75], v24                                 // 000000002F10: DBFE0000 48000018
	ds_read_b128 a[76:79], v25                                 // 000000002F18: DBFE0000 4C000019
	ds_read_b128 a[80:83], v24 offset:1024                     // 000000002F20: DBFE0400 50000018
	ds_read_b128 a[84:87], v25 offset:1024                     // 000000002F28: DBFE0400 54000019
	ds_read_b128 a[88:91], v24 offset:2048                     // 000000002F30: DBFE0800 58000018
	ds_read_b128 a[92:95], v25 offset:2048                     // 000000002F38: DBFE0800 5C000019
	ds_read_b128 a[96:99], v24 offset:3072                     // 000000002F40: DBFE0C00 60000018
	ds_read_b128 a[100:103], v25 offset:3072                   // 000000002F48: DBFE0C00 64000019
	ds_read_b128 a[104:107], v24 offset:4096                   // 000000002F50: DBFE1000 68000018
	ds_read_b128 a[108:111], v25 offset:4096                   // 000000002F58: DBFE1000 6C000019
	ds_read_b128 a[112:115], v24 offset:5120                   // 000000002F60: DBFE1400 70000018
	ds_read_b128 a[116:119], v25 offset:5120                   // 000000002F68: DBFE1400 74000019
	ds_read_b128 a[120:123], v24 offset:6144                   // 000000002F70: DBFE1800 78000018
	ds_read_b128 a[124:127], v25 offset:6144                   // 000000002F78: DBFE1800 7C000019
	ds_read_b128 a[128:131], v24 offset:7168                   // 000000002F80: DBFE1C00 80000018
	ds_read_b128 a[132:135], v25 offset:7168                   // 000000002F88: DBFE1C00 84000019
	ds_read_b128 a[136:139], v24 offset:8192                   // 000000002F90: DBFE2000 88000018
	ds_read_b128 a[140:143], v25 offset:8192                   // 000000002F98: DBFE2000 8C000019
	s_cmp_lt_u32 s71, 1                                        // 000000002FA0: BF0A8147
	s_cselect_b32 s83, 64, 0                                   // 000000002FA4: 855380C0
	s_cbranch_scc1 label_7608                                  // 000000002FA8: BF851A57
	s_waitcnt lgkmcnt(4)                                       // 000000002FAC: BF8CC47F
	s_waitcnt vmcnt(0)                                         // 000000002FB0: BF8C0F70
	s_barrier                                                  // 000000002FB4: BF8A0000
	v_mfma_f32_32x32x64_f8f6f4 v[44:59], a[72:79], a[0:7], 0   // 000000002FB8: D3AE002C 1A020148
	v_mul_u32_u24_e64 v217, v32, s68                           // 000000002FC0: D10800D9 00008920
	v_add_u32_e32 v217, v217, v1                               // 000000002FC8: 69B203D9
	buffer_load_dword v30, v34, s[24:27], 0 offen              // 000000002FCC: E0501000 80061E22
	ds_read_b128 a[72:75], v26                                 // 000000002FD4: DBFE0000 4800001A
	ds_read_b128 a[76:79], v27                                 // 000000002FDC: DBFE0000 4C00001B
	v_mfma_f32_32x32x64_f8f6f4 v[44:59], a[80:87], a[8:15], v[44:59]// 000000002FE4: D3AE002C 1CB21150
	s_mov_b32 s56, 0x1d000                                     // 000000002FEC: BEB800FF 0001D000
	s_mul_i32 s57, s7, 0x2400                                  // 000000002FF4: 9239FF07 00002400
	s_add_u32 m0, s56, s57                                     // 000000002FFC: 807C3938
	buffer_load_dwordx4 v217, s[20:23], 0 offen lds            // 000000003000: E05D1000 800500D9
	s_add_i32 m0, m0, 0x3c0                                    // 000000003008: 817CFF7C 000003C0
	ds_read_b128 a[80:83], v26 offset:1024                     // 000000003010: DBFE0400 5000001A
	ds_read_b128 a[84:87], v27 offset:1024                     // 000000003018: DBFE0400 5400001B
	v_mfma_f32_32x32x64_f8f6f4 v[44:59], a[88:95], a[16:23], v[44:59]// 000000003020: D3AE002C 1CB22158
	ds_read_b128 a[88:91], v26 offset:2048                     // 000000003028: DBFE0800 5800001A
	ds_read_b128 a[92:95], v27 offset:2048                     // 000000003030: DBFE0800 5C00001B
	v_mfma_f32_32x32x64_f8f6f4 v[44:59], a[96:103], a[24:31], v[44:59]// 000000003038: D3AE002C 1CB23160
	buffer_load_dwordx4 v217, s[20:23], 0 offen offset:64 lds  // 000000003040: E05D1040 800500D9
	s_add_i32 m0, m0, 0x3c0                                    // 000000003048: 817CFF7C 000003C0
	ds_read_b128 a[96:99], v26 offset:3072                     // 000000003050: DBFE0C00 6000001A
	ds_read_b128 a[100:103], v27 offset:3072                   // 000000003058: DBFE0C00 6400001B
	v_mfma_f32_32x32x64_f8f6f4 v[44:59], a[104:111], a[32:39], v[44:59]// 000000003060: D3AE002C 1CB24168
	ds_read_b128 a[104:107], v26 offset:4096                   // 000000003068: DBFE1000 6800001A
	ds_read_b128 a[108:111], v27 offset:4096                   // 000000003070: DBFE1000 6C00001B
	v_mfma_f32_32x32x64_f8f6f4 v[44:59], a[112:119], a[40:47], v[44:59]// 000000003078: D3AE002C 1CB25170
	buffer_load_dwordx4 v217, s[20:23], 0 offen offset:128 lds // 000000003080: E05D1080 800500D9
	s_add_i32 m0, m0, 0x3c0                                    // 000000003088: 817CFF7C 000003C0
	ds_read_b128 a[112:115], v26 offset:5120                   // 000000003090: DBFE1400 7000001A
	ds_read_b128 a[116:119], v27 offset:5120                   // 000000003098: DBFE1400 7400001B
	v_mfma_f32_32x32x64_f8f6f4 v[44:59], a[120:127], a[48:55], v[44:59]// 0000000030A0: D3AE002C 1CB26178
	ds_read_b128 a[120:123], v26 offset:6144                   // 0000000030A8: DBFE1800 7800001A
	ds_read_b128 a[124:127], v27 offset:6144                   // 0000000030B0: DBFE1800 7C00001B
	v_mfma_f32_32x32x64_f8f6f4 v[44:59], a[128:135], a[56:63], v[44:59]// 0000000030B8: D3AE002C 1CB27180
	buffer_load_dwordx4 v217, s[20:23], 0 offen offset:192 lds // 0000000030C0: E05D10C0 800500D9
	s_add_i32 m0, m0, 0x3c0                                    // 0000000030C8: 817CFF7C 000003C0
	ds_read_b128 a[128:131], v26 offset:7168                   // 0000000030D0: DBFE1C00 8000001A
	ds_read_b128 a[132:135], v27 offset:7168                   // 0000000030D8: DBFE1C00 8400001B
	v_mfma_f32_32x32x64_f8f6f4 v[44:59], a[136:143], a[64:71], v[44:59]// 0000000030E0: D3AE002C 1CB28188
	ds_read_b128 a[136:139], v26 offset:8192                   // 0000000030E8: DBFE2000 8800001A
	ds_read_b128 a[140:143], v27 offset:8192                   // 0000000030F0: DBFE2000 8C00001B
	buffer_load_dwordx4 v217, s[20:23], 0 offen offset:256 lds // 0000000030F8: E05D1100 800500D9
	s_add_i32 m0, m0, 0x3c0                                    // 000000003100: 817CFF7C 000003C0
	buffer_load_dwordx4 v217, s[20:23], 0 offen offset:320 lds // 000000003108: E05D1140 800500D9
	s_add_i32 m0, m0, 0x3c0                                    // 000000003110: 817CFF7C 000003C0
	buffer_load_dwordx4 v217, s[20:23], 0 offen offset:384 lds // 000000003118: E05D1180 800500D9
	s_add_i32 m0, m0, 0x3c0                                    // 000000003120: 817CFF7C 000003C0
	buffer_load_dwordx4 v217, s[20:23], 0 offen offset:448 lds // 000000003128: E05D11C0 800500D9
	s_add_i32 m0, m0, 0x3c0                                    // 000000003130: 817CFF7C 000003C0
	buffer_load_dwordx4 v217, s[20:23], 0 offen offset:512 lds // 000000003138: E05D1200 800500D9
	s_add_i32 m0, m0, 0x3c0                                    // 000000003140: 817CFF7C 000003C0
	v_add_u32_e32 v34, s73, v34                                // 000000003148: 68444449
	s_mov_b32 s83, 64                                          // 00000000314C: BED300C0
	s_cmp_le_i32 s83, s82                                      // 000000003150: BF055253
	s_cbranch_scc1 label_103C                                  // 000000003154: BF850079
	s_mov_b32 s36, 0xffff0000                                  // 000000003158: BEA400FF FFFF0000
	s_mov_b32 s37, 0xffff0000                                  // 000000003160: BEA500FF FFFF0000
	v_mov_b32_e32 v36, s82                                     // 000000003168: 7E480252
	s_add_i32 s56, s82, 1                                      // 00000000316C: 81388152
	v_mov_b32_e32 v37, s56                                     // 000000003170: 7E4A0238
	v_cndmask_b32_e64 v35, v36, v37, s[36:37]                  // 000000003174: D1000023 00924B24
	s_and_b32 s56, 2, s7                                       // 00000000317C: 86380782
	v_add_i32 v35, s56, v35                                    // 000000003180: D29C0023 00024638
	s_sub_u32 s56, s83, 64                                     // 000000003188: 80B8C053
	v_lshrrev_b32_e32 v204, 5, v0                              // 00000000318C: 21980085
	v_mul_i32_i24_e32 v204, 4, v204                            // 000000003190: 0D999884
	v_add_u32_e32 v204, s56, v204                              // 000000003194: 69999838
	s_and_b32 s56, s7, 1                                       // 000000003198: 86388107
	s_mov_b32 s57, 32                                          // 00000000319C: BEB900A0
	s_mul_i32 s56, s57, s56                                    // 0000000031A0: 92383839
	v_add_u32_e32 v204, s56, v204                              // 0000000031A4: 69999838
	v_add_u32_e32 v205, 1, v204                                // 0000000031A8: 699B9881
	v_add_u32_e32 v206, 2, v204                                // 0000000031AC: 699D9882
	v_add_u32_e32 v207, 3, v204                                // 0000000031B0: 699F9883
	v_mov_b32_e32 v37, 0xff800000                              // 0000000031B4: 7E4A02FF FF800000
	v_cmp_le_i32_e64 s[36:37], v204, v35                       // 0000000031BC: D0C30024 000247CC
	s_nop 0                                                    // 0000000031C4: BF800000
	v_cndmask_b32_e64 v44, v37, v44, s[36:37]                  // 0000000031C8: D100002C 00925925
	v_add_u32_e32 v204, 8, v204                                // 0000000031D0: 69999888
	v_cmp_le_i32_e64 s[36:37], v205, v35                       // 0000000031D4: D0C30024 000247CD
	s_nop 0                                                    // 0000000031DC: BF800000
	v_cndmask_b32_e64 v45, v37, v45, s[36:37]                  // 0000000031E0: D100002D 00925B25
	v_add_u32_e32 v205, 8, v205                                // 0000000031E8: 699B9A88
	v_cmp_le_i32_e64 s[36:37], v206, v35                       // 0000000031EC: D0C30024 000247CE
	s_nop 0                                                    // 0000000031F4: BF800000
	v_cndmask_b32_e64 v46, v37, v46, s[36:37]                  // 0000000031F8: D100002E 00925D25
	v_add_u32_e32 v206, 8, v206                                // 000000003200: 699D9C88
	v_cmp_le_i32_e64 s[36:37], v207, v35                       // 000000003204: D0C30024 000247CF
	s_nop 0                                                    // 00000000320C: BF800000
	v_cndmask_b32_e64 v47, v37, v47, s[36:37]                  // 000000003210: D100002F 00925F25
	v_add_u32_e32 v207, 8, v207                                // 000000003218: 699F9E88
	v_cmp_le_i32_e64 s[36:37], v204, v35                       // 00000000321C: D0C30024 000247CC
	s_nop 0                                                    // 000000003224: BF800000
	v_cndmask_b32_e64 v48, v37, v48, s[36:37]                  // 000000003228: D1000030 00926125
	v_add_u32_e32 v204, 8, v204                                // 000000003230: 69999888
	v_cmp_le_i32_e64 s[36:37], v205, v35                       // 000000003234: D0C30024 000247CD
	s_nop 0                                                    // 00000000323C: BF800000
	v_cndmask_b32_e64 v49, v37, v49, s[36:37]                  // 000000003240: D1000031 00926325
	v_add_u32_e32 v205, 8, v205                                // 000000003248: 699B9A88
	v_cmp_le_i32_e64 s[36:37], v206, v35                       // 00000000324C: D0C30024 000247CE
	s_nop 0                                                    // 000000003254: BF800000
	v_cndmask_b32_e64 v50, v37, v50, s[36:37]                  // 000000003258: D1000032 00926525
	v_add_u32_e32 v206, 8, v206                                // 000000003260: 699D9C88
	v_cmp_le_i32_e64 s[36:37], v207, v35                       // 000000003264: D0C30024 000247CF
	s_nop 0                                                    // 00000000326C: BF800000
	v_cndmask_b32_e64 v51, v37, v51, s[36:37]                  // 000000003270: D1000033 00926725
	v_add_u32_e32 v207, 8, v207                                // 000000003278: 699F9E88
	v_cmp_le_i32_e64 s[36:37], v204, v35                       // 00000000327C: D0C30024 000247CC
	s_nop 0                                                    // 000000003284: BF800000
	v_cndmask_b32_e64 v52, v37, v52, s[36:37]                  // 000000003288: D1000034 00926925
	v_add_u32_e32 v204, 8, v204                                // 000000003290: 69999888
	v_cmp_le_i32_e64 s[36:37], v205, v35                       // 000000003294: D0C30024 000247CD
	s_nop 0                                                    // 00000000329C: BF800000
	v_cndmask_b32_e64 v53, v37, v53, s[36:37]                  // 0000000032A0: D1000035 00926B25
	v_add_u32_e32 v205, 8, v205                                // 0000000032A8: 699B9A88
	v_cmp_le_i32_e64 s[36:37], v206, v35                       // 0000000032AC: D0C30024 000247CE
	s_nop 0                                                    // 0000000032B4: BF800000
	v_cndmask_b32_e64 v54, v37, v54, s[36:37]                  // 0000000032B8: D1000036 00926D25
	v_add_u32_e32 v206, 8, v206                                // 0000000032C0: 699D9C88
	v_cmp_le_i32_e64 s[36:37], v207, v35                       // 0000000032C4: D0C30024 000247CF
	s_nop 0                                                    // 0000000032CC: BF800000
	v_cndmask_b32_e64 v55, v37, v55, s[36:37]                  // 0000000032D0: D1000037 00926F25
	v_add_u32_e32 v207, 8, v207                                // 0000000032D8: 699F9E88
	v_cmp_le_i32_e64 s[36:37], v204, v35                       // 0000000032DC: D0C30024 000247CC
	s_nop 0                                                    // 0000000032E4: BF800000
	v_cndmask_b32_e64 v56, v37, v56, s[36:37]                  // 0000000032E8: D1000038 00927125
	v_add_u32_e32 v204, 8, v204                                // 0000000032F0: 69999888
	v_cmp_le_i32_e64 s[36:37], v205, v35                       // 0000000032F4: D0C30024 000247CD
	s_nop 0                                                    // 0000000032FC: BF800000
	v_cndmask_b32_e64 v57, v37, v57, s[36:37]                  // 000000003300: D1000039 00927325
	v_add_u32_e32 v205, 8, v205                                // 000000003308: 699B9A88
	v_cmp_le_i32_e64 s[36:37], v206, v35                       // 00000000330C: D0C30024 000247CE
	s_nop 0                                                    // 000000003314: BF800000
	v_cndmask_b32_e64 v58, v37, v58, s[36:37]                  // 000000003318: D100003A 00927525
	v_add_u32_e32 v206, 8, v206                                // 000000003320: 699D9C88
	v_cmp_le_i32_e64 s[36:37], v207, v35                       // 000000003324: D0C30024 000247CF
	s_nop 0                                                    // 00000000332C: BF800000
	v_cndmask_b32_e64 v59, v37, v59, s[36:37]                  // 000000003330: D100003B 00927725
	v_add_u32_e32 v207, 8, v207                                // 000000003338: 699F9E88

000000000000333c <label_103C>:
	s_add_u32 s83, s84, s83                                    // 00000000333C: 80535354
	s_nop 2                                                    // 000000003340: BF800002
	v_mov_b32_e32 v213, v44                                    // 000000003344: 7FAA032C
	v_max3_f32 v213, v44, v45, v213                            // 000000003348: D1D300D5 07565B2C
	v_max3_f32 v213, v46, v47, v213                            // 000000003350: D1D300D5 07565F2E
	v_max3_f32 v213, v48, v49, v213                            // 000000003358: D1D300D5 07566330
	v_max3_f32 v213, v50, v51, v213                            // 000000003360: D1D300D5 07566732
	v_max3_f32 v213, v52, v53, v213                            // 000000003368: D1D300D5 07566B34
	v_max3_f32 v213, v54, v55, v213                            // 000000003370: D1D300D5 07566F36
	v_max3_f32 v213, v56, v57, v213                            // 000000003378: D1D300D5 07567338
	v_max3_f32 v213, v58, v59, v213                            // 000000003380: D1D300D5 0756773A
	v_mov_b32_e32 v35, v213                                    // 000000003388: 7E4603D5
	v_mov_b32_e32 v36, v213                                    // 00000000338C: 7E4803D5
	s_nop 1                                                    // 000000003390: BF800001
	v_permlane32_swap_b32_e32 v35, v36                         // 000000003394: 7E46B524
	v_max3_f32 v213, v35, v36, v213                            // 000000003398: D1D300D5 07564923
	ds_write_b32 v41, v213                                     // 0000000033A0: D81A0000 0000D529
	s_waitcnt lgkmcnt(0)                                       // 0000000033A8: BF8CC07F
	s_barrier                                                  // 0000000033AC: BF8A0000
	ds_read_b32 v35, v40                                       // 0000000033B0: D86C0000 23000028
	ds_read_b32 v36, v40 offset:256                            // 0000000033B8: D86C0100 24000028
	s_waitcnt lgkmcnt(0)                                       // 0000000033C0: BF8CC07F
	v_max3_f32 v213, v35, v36, v213                            // 0000000033C4: D1D300D5 07564923
	v_mov_b32_e32 v35, 0xff800000                              // 0000000033CC: 7E4602FF FF800000
	v_cmp_eq_u32_e64 s[36:37], v35, v2                         // 0000000033D4: D0CA0024 00020523
	v_max_f32_e32 v216, v213, v2                               // 0000000033DC: 17B005D5
	v_sub_f32_e32 v21, v2, v216                                // 0000000033E0: 042BB102
	v_cndmask_b32_e64 v21, v21, 0, s[36:37]                    // 0000000033E4: D1000015 00910115
	v_mov_b32_e32 v2, v216                                     // 0000000033EC: 7E0403D8
	v_mul_f32_e32 v212, s5, v216                               // 0000000033F0: 0BA9B005
	v_mul_f32_e32 v21, s5, v21                                 // 0000000033F4: 0A2A2A05
	v_exp_f32_e32 v21, v21                                     // 0000000033F8: 7E2A4115
	v_fma_f32 v44, v44, s5, -v212                              // 0000000033FC: D1CB002C 87500B2C
	v_fma_f32 v45, v45, s5, -v212                              // 000000003404: D1CB002D 87500B2D
	v_fma_f32 v46, v46, s5, -v212                              // 00000000340C: D1CB002E 87500B2E
	v_fma_f32 v47, v47, s5, -v212                              // 000000003414: D1CB002F 87500B2F
	v_fma_f32 v48, v48, s5, -v212                              // 00000000341C: D1CB0030 87500B30
	v_fma_f32 v49, v49, s5, -v212                              // 000000003424: D1CB0031 87500B31
	v_fma_f32 v50, v50, s5, -v212                              // 00000000342C: D1CB0032 87500B32
	v_fma_f32 v51, v51, s5, -v212                              // 000000003434: D1CB0033 87500B33
	v_fma_f32 v52, v52, s5, -v212                              // 00000000343C: D1CB0034 87500B34
	v_fma_f32 v53, v53, s5, -v212                              // 000000003444: D1CB0035 87500B35
	v_fma_f32 v54, v54, s5, -v212                              // 00000000344C: D1CB0036 87500B36
	v_fma_f32 v55, v55, s5, -v212                              // 000000003454: D1CB0037 87500B37
	v_fma_f32 v56, v56, s5, -v212                              // 00000000345C: D1CB0038 87500B38
	v_fma_f32 v57, v57, s5, -v212                              // 000000003464: D1CB0039 87500B39
	v_fma_f32 v58, v58, s5, -v212                              // 00000000346C: D1CB003A 87500B3A
	v_fma_f32 v59, v59, s5, -v212                              // 000000003474: D1CB003B 87500B3B
	v_mov_b32_e32 v35, 0xffc00000                              // 00000000347C: 7E4602FF FFC00000
	v_exp_f32_e32 v44, v44                                     // 000000003484: 7E58412C
	v_exp_f32_e32 v45, v45                                     // 000000003488: 7E5A412D
	v_exp_f32_e32 v46, v46                                     // 00000000348C: 7E5C412E
	v_exp_f32_e32 v47, v47                                     // 000000003490: 7E5E412F
	v_exp_f32_e32 v48, v48                                     // 000000003494: 7E604130
	v_exp_f32_e32 v49, v49                                     // 000000003498: 7E624131
	v_exp_f32_e32 v50, v50                                     // 00000000349C: 7E644132
	v_exp_f32_e32 v51, v51                                     // 0000000034A0: 7E664133
	v_exp_f32_e32 v52, v52                                     // 0000000034A4: 7E684134
	v_exp_f32_e32 v53, v53                                     // 0000000034A8: 7E6A4135
	v_exp_f32_e32 v54, v54                                     // 0000000034AC: 7E6C4136
	v_exp_f32_e32 v55, v55                                     // 0000000034B0: 7E6E4137
	v_exp_f32_e32 v56, v56                                     // 0000000034B4: 7E704138
	v_exp_f32_e32 v57, v57                                     // 0000000034B8: 7E724139
	v_exp_f32_e32 v58, v58                                     // 0000000034BC: 7E74413A
	v_exp_f32_e32 v59, v59                                     // 0000000034C0: 7E76413B
	v_mul_f32_e32 v4, v21, v4                                  // 0000000034C4: 0A080915
	v_mov_b32_e32 v35, v44                                     // 0000000034C8: 7E46032C
	v_add_f32_e32 v35, v45, v35                                // 0000000034CC: 0246472D
	v_add_f32_e32 v35, v46, v35                                // 0000000034D0: 0246472E
	v_add_f32_e32 v35, v47, v35                                // 0000000034D4: 0246472F
	v_add_f32_e32 v35, v48, v35                                // 0000000034D8: 02464730
	v_add_f32_e32 v35, v49, v35                                // 0000000034DC: 02464731
	v_add_f32_e32 v35, v50, v35                                // 0000000034E0: 02464732
	v_add_f32_e32 v35, v51, v35                                // 0000000034E4: 02464733
	v_add_f32_e32 v35, v52, v35                                // 0000000034E8: 02464734
	v_add_f32_e32 v35, v53, v35                                // 0000000034EC: 02464735
	v_add_f32_e32 v35, v54, v35                                // 0000000034F0: 02464736
	v_add_f32_e32 v35, v55, v35                                // 0000000034F4: 02464737
	v_add_f32_e32 v35, v56, v35                                // 0000000034F8: 02464738
	v_add_f32_e32 v35, v57, v35                                // 0000000034FC: 02464739
	v_add_f32_e32 v35, v58, v35                                // 000000003500: 0246473A
	v_add_f32_e32 v35, v59, v35                                // 000000003504: 0246473B
	v_add_f32_e32 v4, v35, v4                                  // 000000003508: 02080923
	v_cvt_pk_fp8_f32 v44, v44, v45                             // 00000000350C: D2A2002C 00025B2C
	v_cvt_pk_fp8_f32 v44, v46, v47 op_sel:[0,0,1]              // 000000003514: D2A2402C 00025F2E
	v_cvt_pk_fp8_f32 v45, v48, v49                             // 00000000351C: D2A2002D 00026330
	v_cvt_pk_fp8_f32 v45, v50, v51 op_sel:[0,0,1]              // 000000003524: D2A2402D 00026732
	v_cvt_pk_fp8_f32 v46, v52, v53                             // 00000000352C: D2A2002E 00026B34
	v_cvt_pk_fp8_f32 v46, v54, v55 op_sel:[0,0,1]              // 000000003534: D2A2402E 00026F36
	v_cvt_pk_fp8_f32 v47, v56, v57                             // 00000000353C: D2A2002F 00027338
	v_cvt_pk_fp8_f32 v47, v58, v59 op_sel:[0,0,1]              // 000000003544: D2A2402F 0002773A
	ds_write_b128 v43, v[44:47] offset:1024                    // 00000000354C: D9BE0400 00002C2B
	s_waitcnt lgkmcnt(0)                                       // 000000003554: BF8CC07F
	s_barrier                                                  // 000000003558: BF8A0000
	ds_read_b128 v[44:47], v42 offset:1024                     // 00000000355C: D9FE0400 2C00002A
	ds_read_b128 v[48:51], v42 offset:2048                     // 000000003564: D9FE0800 3000002A
	s_waitcnt lgkmcnt(0)                                       // 00000000356C: BF8CC07F
	v_permlane32_swap_b32_e32 v44, v46                         // 000000003570: 7E58B52E
	v_permlane32_swap_b32_e32 v45, v47                         // 000000003574: 7E5AB52F
	v_swap_b32 v45, v46                                        // 000000003578: 7E5AA32E
	v_permlane32_swap_b32_e32 v48, v50                         // 00000000357C: 7E60B532
	v_permlane32_swap_b32_e32 v49, v51                         // 000000003580: 7E62B533
	v_swap_b32 v49, v50                                        // 000000003584: 7E62A332
	s_addk_i32 s70, 0x1                                        // 000000003588: B7460001
	s_cmp_eq_u32 s71, s70                                      // 00000000358C: BF064647
	s_cbranch_scc1 label_4E64                                  // 000000003590: BF850EF4
	s_waitcnt lgkmcnt(4)                                       // 000000003594: BF8CC47F
	v_mfma_f32_32x32x64_f8f6f4 v[60:75], a[72:79], a[0:7], 0   // 000000003598: D3AE003C 1A020148
	v_mul_u32_u24_e64 v217, v33, s68                           // 0000000035A0: D10800D9 00008921
	v_add_u32_e32 v217, v217, v1                               // 0000000035A8: 69B203D9
	buffer_load_dword v31, v34, s[24:27], 0 offen              // 0000000035AC: E0501000 80061F22
	ds_read_b64_tr_b8 a[72:73], v9                             // 0000000035B4: DBC40000 48000009
	ds_read_b64_tr_b8 a[74:75], v10                            // 0000000035BC: DBC40000 4A00000A
	ds_read_b64_tr_b8 a[76:77], v9 offset:18432                // 0000000035C4: DBC44800 4C000009
	ds_read_b64_tr_b8 a[78:79], v10 offset:18432               // 0000000035CC: DBC44800 4E00000A
	v_mfma_f32_32x32x64_f8f6f4 v[60:75], a[80:87], a[8:15], v[60:75]// 0000000035D4: D3AE003C 1CF21150
	s_mov_b32 s56, 0x2000                                      // 0000000035DC: BEB800FF 00002000
	s_mul_i32 s57, s7, 0x2400                                  // 0000000035E4: 9239FF07 00002400
	s_add_u32 m0, s56, s57                                     // 0000000035EC: 807C3938
	buffer_load_dwordx4 v217, s[20:23], 0 offen lds            // 0000000035F0: E05D1000 800500D9
	s_add_i32 m0, m0, 0x3c0                                    // 0000000035F8: 817CFF7C 000003C0
	ds_read_b64_tr_b8 a[80:81], v11                            // 000000003600: DBC40000 5000000B
	ds_read_b64_tr_b8 a[82:83], v12                            // 000000003608: DBC40000 5200000C
	ds_read_b64_tr_b8 a[84:85], v11 offset:18432               // 000000003610: DBC44800 5400000B
	ds_read_b64_tr_b8 a[86:87], v12 offset:18432               // 000000003618: DBC44800 5600000C
	v_mfma_f32_32x32x64_f8f6f4 v[60:75], a[88:95], a[16:23], v[60:75]// 000000003620: D3AE003C 1CF22158
	ds_read_b64_tr_b8 a[88:89], v9 offset:1024                 // 000000003628: DBC40400 58000009
	ds_read_b64_tr_b8 a[90:91], v10 offset:1024                // 000000003630: DBC40400 5A00000A
	ds_read_b64_tr_b8 a[92:93], v9 offset:19456                // 000000003638: DBC44C00 5C000009
	ds_read_b64_tr_b8 a[94:95], v10 offset:19456               // 000000003640: DBC44C00 5E00000A
	v_mfma_f32_32x32x64_f8f6f4 v[60:75], a[96:103], a[24:31], v[60:75]// 000000003648: D3AE003C 1CF23160
	buffer_load_dwordx4 v217, s[20:23], 0 offen offset:64 lds  // 000000003650: E05D1040 800500D9
	s_add_i32 m0, m0, 0x3c0                                    // 000000003658: 817CFF7C 000003C0
	ds_read_b64_tr_b8 a[96:97], v11 offset:1024                // 000000003660: DBC40400 6000000B
	ds_read_b64_tr_b8 a[98:99], v12 offset:1024                // 000000003668: DBC40400 6200000C
	ds_read_b64_tr_b8 a[100:101], v11 offset:19456             // 000000003670: DBC44C00 6400000B
	ds_read_b64_tr_b8 a[102:103], v12 offset:19456             // 000000003678: DBC44C00 6600000C
	v_mfma_f32_32x32x64_f8f6f4 v[60:75], a[104:111], a[32:39], v[60:75]// 000000003680: D3AE003C 1CF24168
	ds_read_b64_tr_b8 a[104:105], v9 offset:2048               // 000000003688: DBC40800 68000009
	ds_read_b64_tr_b8 a[106:107], v10 offset:2048              // 000000003690: DBC40800 6A00000A
	ds_read_b64_tr_b8 a[108:109], v9 offset:20480              // 000000003698: DBC45000 6C000009
	ds_read_b64_tr_b8 a[110:111], v10 offset:20480             // 0000000036A0: DBC45000 6E00000A
	v_mfma_f32_32x32x64_f8f6f4 v[60:75], a[112:119], a[40:47], v[60:75]// 0000000036A8: D3AE003C 1CF25170
	buffer_load_dwordx4 v217, s[20:23], 0 offen offset:128 lds // 0000000036B0: E05D1080 800500D9
	s_add_i32 m0, m0, 0x3c0                                    // 0000000036B8: 817CFF7C 000003C0
	ds_read_b64_tr_b8 a[112:113], v11 offset:2048              // 0000000036C0: DBC40800 7000000B
	ds_read_b64_tr_b8 a[114:115], v12 offset:2048              // 0000000036C8: DBC40800 7200000C
	ds_read_b64_tr_b8 a[116:117], v11 offset:20480             // 0000000036D0: DBC45000 7400000B
	ds_read_b64_tr_b8 a[118:119], v12 offset:20480             // 0000000036D8: DBC45000 7600000C
	v_mfma_f32_32x32x64_f8f6f4 v[60:75], a[120:127], a[48:55], v[60:75]// 0000000036E0: D3AE003C 1CF26178
	ds_read_b64_tr_b8 a[120:121], v9 offset:3072               // 0000000036E8: DBC40C00 78000009
	ds_read_b64_tr_b8 a[122:123], v10 offset:3072              // 0000000036F0: DBC40C00 7A00000A
	ds_read_b64_tr_b8 a[124:125], v9 offset:21504              // 0000000036F8: DBC45400 7C000009
	ds_read_b64_tr_b8 a[126:127], v10 offset:21504             // 000000003700: DBC45400 7E00000A
	v_mfma_f32_32x32x64_f8f6f4 v[60:75], a[128:135], a[56:63], v[60:75]// 000000003708: D3AE003C 1CF27180
	buffer_load_dwordx4 v217, s[20:23], 0 offen offset:192 lds // 000000003710: E05D10C0 800500D9
	s_add_i32 m0, m0, 0x3c0                                    // 000000003718: 817CFF7C 000003C0
	ds_read_b64_tr_b8 a[128:129], v11 offset:3072              // 000000003720: DBC40C00 8000000B
	ds_read_b64_tr_b8 a[130:131], v12 offset:3072              // 000000003728: DBC40C00 8200000C
	ds_read_b64_tr_b8 a[132:133], v11 offset:21504             // 000000003730: DBC45400 8400000B
	ds_read_b64_tr_b8 a[134:135], v12 offset:21504             // 000000003738: DBC45400 8600000C
	v_mfma_f32_32x32x64_f8f6f4 v[60:75], a[136:143], a[64:71], v[60:75]// 000000003740: D3AE003C 1CF28188
	buffer_load_dwordx4 v217, s[20:23], 0 offen offset:256 lds // 000000003748: E05D1100 800500D9
	s_add_i32 m0, m0, 0x3c0                                    // 000000003750: 817CFF7C 000003C0
	buffer_load_dwordx4 v217, s[20:23], 0 offen offset:320 lds // 000000003758: E05D1140 800500D9
	s_add_i32 m0, m0, 0x3c0                                    // 000000003760: 817CFF7C 000003C0
	buffer_load_dwordx4 v217, s[20:23], 0 offen offset:384 lds // 000000003768: E05D1180 800500D9
	s_add_i32 m0, m0, 0x3c0                                    // 000000003770: 817CFF7C 000003C0
	buffer_load_dwordx4 v217, s[20:23], 0 offen offset:448 lds // 000000003778: E05D11C0 800500D9
	s_add_i32 m0, m0, 0x3c0                                    // 000000003780: 817CFF7C 000003C0
	buffer_load_dwordx4 v217, s[20:23], 0 offen offset:512 lds // 000000003788: E05D1200 800500D9
	s_add_i32 m0, m0, 0x3c0                                    // 000000003790: 817CFF7C 000003C0
	v_add_u32_e32 v34, s73, v34                                // 000000003798: 68444449
	s_addk_i32 s70, 0x1                                        // 00000000379C: B7460001
	s_cmp_eq_u32 s71, s70                                      // 0000000037A0: BF064647
	s_cbranch_scc1 label_503C                                  // 0000000037A4: BF850EE5
	s_cmp_lt_i32 s7, 2                                         // 0000000037A8: BF048207
	s_cbranch_scc0 label_3190                                  // 0000000037AC: BF840738

00000000000037b0 <label_14B0>:
	v_mul_u32_u24_e64 v217, v30, s68                           // 0000000037B0: D10800D9 0000891E
	v_add_u32_e32 v217, v217, v1                               // 0000000037B8: 69B203D9
	s_waitcnt vmcnt(10)                                        // 0000000037BC: BF8C0F7A
	s_barrier                                                  // 0000000037C0: BF8A0000
	s_waitcnt lgkmcnt(8)                                       // 0000000037C4: BF8CC87F
	v_mfma_f32_32x32x64_f8f6f4 v[76:91], a[72:79], v[44:51], v[76:91]// 0000000037C8: D3AE004C 0D325948
	ds_read_b128 a[72:75], v28                                 // 0000000037D0: DBFE0000 4800001C
	ds_read_b128 a[76:79], v29                                 // 0000000037D8: DBFE0000 4C00001D
	v_mov_b32_e32 v213, v60                                    // 0000000037E0: 7FAA033C
	v_max3_f32 v213, v60, v61, v213                            // 0000000037E4: D1D300D5 07567B3C
	v_max3_f32 v213, v62, v63, v213                            // 0000000037EC: D1D300D5 07567F3E
	v_max3_f32 v213, v64, v65, v213                            // 0000000037F4: D1D300D5 07568340
	v_max3_f32 v213, v66, v67, v213                            // 0000000037FC: D1D300D5 07568742
	v_max3_f32 v213, v68, v69, v213                            // 000000003804: D1D300D5 07568B44
	v_max3_f32 v213, v70, v71, v213                            // 00000000380C: D1D300D5 07568F46
	v_max3_f32 v213, v72, v73, v213                            // 000000003814: D1D300D5 07569348
	v_max3_f32 v213, v74, v75, v213                            // 00000000381C: D1D300D5 0756974A
	v_mov_b32_e32 v35, v213                                    // 000000003824: 7E4603D5
	v_mov_b32_e32 v36, v213                                    // 000000003828: 7E4803D5
	s_nop 0                                                    // 00000000382C: BF800000
	v_mfma_f32_32x32x64_f8f6f4 v[92:107], a[80:87], v[44:51], v[92:107]// 000000003830: D3AE005C 0D725950
	v_permlane32_swap_b32_e32 v35, v36                         // 000000003838: 7E46B524
	v_max3_f32 v213, v35, v36, v213                            // 00000000383C: D1D300D5 07564923
	ds_write_b32 v41, v213                                     // 000000003844: D81A0000 0000D529
	s_mov_b32 s56, 0xb000                                      // 00000000384C: BEB800FF 0000B000
	s_mul_i32 s57, s7, 0x2400                                  // 000000003854: 9239FF07 00002400
	s_add_u32 m0, s56, s57                                     // 00000000385C: 807C3938
	buffer_load_dwordx4 v217, s[20:23], 0 offen lds            // 000000003860: E05D1000 800500D9
	s_add_i32 m0, m0, 0x3c0                                    // 000000003868: 817CFF7C 000003C0
	buffer_load_dwordx4 v217, s[20:23], 0 offen offset:64 lds  // 000000003870: E05D1040 800500D9
	s_add_i32 m0, m0, 0x3c0                                    // 000000003878: 817CFF7C 000003C0
	s_waitcnt lgkmcnt(0)                                       // 000000003880: BF8CC07F
	s_barrier                                                  // 000000003884: BF8A0000
	v_mfma_f32_32x32x64_f8f6f4 v[108:123], a[88:95], v[44:51], v[108:123]// 000000003888: D3AE006C 0DB25958
	ds_read_b32 v35, v40                                       // 000000003890: D86C0000 23000028
	ds_read_b32 v36, v40 offset:256                            // 000000003898: D86C0100 24000028
	s_waitcnt lgkmcnt(0)                                       // 0000000038A0: BF8CC07F
	v_max3_f32 v213, v35, v36, v213                            // 0000000038A4: D1D300D5 07564923
	v_mov_b32_e32 v35, 0xff800000                              // 0000000038AC: 7E4602FF FF800000
	v_cmp_eq_u32_e64 s[36:37], v35, v2                         // 0000000038B4: D0CA0024 00020523
	v_max_f32_e32 v216, v213, v2                               // 0000000038BC: 17B005D5
	v_sub_f32_e32 v21, v2, v216                                // 0000000038C0: 042BB102
	v_cndmask_b32_e64 v21, v21, 0, s[36:37]                    // 0000000038C4: D1000015 00910115
	v_mfma_f32_32x32x64_f8f6f4 v[124:139], a[96:103], v[44:51], v[124:139]// 0000000038CC: D3AE007C 0DF25960
	buffer_load_dwordx4 v217, s[20:23], 0 offen offset:128 lds // 0000000038D4: E05D1080 800500D9
	s_add_i32 m0, m0, 0x3c0                                    // 0000000038DC: 817CFF7C 000003C0
	v_mov_b32_e32 v2, v216                                     // 0000000038E4: 7E0403D8
	v_mul_f32_e32 v212, s5, v216                               // 0000000038E8: 0BA9B005
	v_mul_f32_e32 v21, s5, v21                                 // 0000000038EC: 0A2A2A05
	v_exp_f32_e32 v21, v21                                     // 0000000038F0: 7E2A4115
	v_fma_f32 v60, v60, s5, -v212                              // 0000000038F4: D1CB003C 87500B3C
	v_fma_f32 v61, v61, s5, -v212                              // 0000000038FC: D1CB003D 87500B3D
	v_fma_f32 v62, v62, s5, -v212                              // 000000003904: D1CB003E 87500B3E
	v_fma_f32 v63, v63, s5, -v212                              // 00000000390C: D1CB003F 87500B3F
	v_fma_f32 v64, v64, s5, -v212                              // 000000003914: D1CB0040 87500B40
	v_fma_f32 v65, v65, s5, -v212                              // 00000000391C: D1CB0041 87500B41
	v_fma_f32 v66, v66, s5, -v212                              // 000000003924: D1CB0042 87500B42
	v_fma_f32 v67, v67, s5, -v212                              // 00000000392C: D1CB0043 87500B43
	v_fma_f32 v68, v68, s5, -v212                              // 000000003934: D1CB0044 87500B44
	v_mfma_f32_32x32x64_f8f6f4 v[140:155], a[104:111], v[44:51], v[140:155]// 00000000393C: D3AE008C 0E325968
	ds_read_b128 a[80:83], v28 offset:1024                     // 000000003944: DBFE0400 5000001C
	ds_read_b128 a[84:87], v29 offset:1024                     // 00000000394C: DBFE0400 5400001D
	ds_read_b128 a[88:91], v28 offset:2048                     // 000000003954: DBFE0800 5800001C
	ds_read_b128 a[92:95], v29 offset:2048                     // 00000000395C: DBFE0800 5C00001D
	ds_read_b128 a[96:99], v28 offset:3072                     // 000000003964: DBFE0C00 6000001C
	ds_read_b128 a[100:103], v29 offset:3072                   // 00000000396C: DBFE0C00 6400001D
	v_fma_f32 v69, v69, s5, -v212                              // 000000003974: D1CB0045 87500B45
	v_fma_f32 v70, v70, s5, -v212                              // 00000000397C: D1CB0046 87500B46
	v_fma_f32 v71, v71, s5, -v212                              // 000000003984: D1CB0047 87500B47
	v_fma_f32 v72, v72, s5, -v212                              // 00000000398C: D1CB0048 87500B48
	v_fma_f32 v73, v73, s5, -v212                              // 000000003994: D1CB0049 87500B49
	v_fma_f32 v74, v74, s5, -v212                              // 00000000399C: D1CB004A 87500B4A
	v_fma_f32 v75, v75, s5, -v212                              // 0000000039A4: D1CB004B 87500B4B
	v_exp_f32_e32 v60, v60                                     // 0000000039AC: 7E78413C
	v_exp_f32_e32 v61, v61                                     // 0000000039B0: 7E7A413D
	v_mfma_f32_32x32x64_f8f6f4 v[156:171], a[112:119], v[44:51], v[156:171]// 0000000039B4: D3AE009C 0E725970
	buffer_load_dwordx4 v217, s[20:23], 0 offen offset:192 lds // 0000000039BC: E05D10C0 800500D9
	s_add_i32 m0, m0, 0x3c0                                    // 0000000039C4: 817CFF7C 000003C0
	v_exp_f32_e32 v62, v62                                     // 0000000039CC: 7E7C413E
	v_exp_f32_e32 v63, v63                                     // 0000000039D0: 7E7E413F
	v_exp_f32_e32 v64, v64                                     // 0000000039D4: 7E804140
	v_exp_f32_e32 v65, v65                                     // 0000000039D8: 7E824141
	v_exp_f32_e32 v66, v66                                     // 0000000039DC: 7E844142
	v_exp_f32_e32 v67, v67                                     // 0000000039E0: 7E864143
	v_exp_f32_e32 v68, v68                                     // 0000000039E4: 7E884144
	v_mfma_f32_32x32x64_f8f6f4 v[172:187], a[120:127], v[44:51], v[172:187]// 0000000039E8: D3AE00AC 0EB25978
	ds_read_b128 a[104:107], v28 offset:4096                   // 0000000039F0: DBFE1000 6800001C
	ds_read_b128 a[108:111], v29 offset:4096                   // 0000000039F8: DBFE1000 6C00001D
	ds_read_b128 a[112:115], v28 offset:5120                   // 000000003A00: DBFE1400 7000001C
	ds_read_b128 a[116:119], v29 offset:5120                   // 000000003A08: DBFE1400 7400001D
	ds_read_b128 a[120:123], v28 offset:6144                   // 000000003A10: DBFE1800 7800001C
	ds_read_b128 a[124:127], v29 offset:6144                   // 000000003A18: DBFE1800 7C00001D
	v_exp_f32_e32 v69, v69                                     // 000000003A20: 7E8A4145
	v_exp_f32_e32 v70, v70                                     // 000000003A24: 7E8C4146
	v_exp_f32_e32 v71, v71                                     // 000000003A28: 7E8E4147
	v_exp_f32_e32 v72, v72                                     // 000000003A2C: 7E904148
	v_exp_f32_e32 v73, v73                                     // 000000003A30: 7E924149
	v_mfma_f32_32x32x64_f8f6f4 v[188:203], a[128:135], v[44:51], v[188:203]// 000000003A34: D3AE00BC 0EF25980
	ds_read_b128 a[128:131], v28 offset:7168                   // 000000003A3C: DBFE1C00 8000001C
	ds_read_b128 a[132:135], v29 offset:7168                   // 000000003A44: DBFE1C00 8400001D
	ds_read_b128 a[136:139], v28 offset:8192                   // 000000003A4C: DBFE2000 8800001C
	ds_read_b128 a[140:143], v29 offset:8192                   // 000000003A54: DBFE2000 8C00001D
	v_exp_f32_e32 v74, v74                                     // 000000003A5C: 7E94414A
	v_exp_f32_e32 v75, v75                                     // 000000003A60: 7E96414B
	v_mul_f32_e32 v4, v21, v4                                  // 000000003A64: 0A080915
	v_mov_b32_e32 v35, v60                                     // 000000003A68: 7E46033C
	v_add_f32_e32 v35, v61, v35                                // 000000003A6C: 0246473D
	v_add_f32_e32 v35, v62, v35                                // 000000003A70: 0246473E
	v_add_f32_e32 v35, v63, v35                                // 000000003A74: 0246473F
	v_add_f32_e32 v35, v64, v35                                // 000000003A78: 02464740
	v_add_f32_e32 v35, v65, v35                                // 000000003A7C: 02464741
	v_add_f32_e32 v35, v66, v35                                // 000000003A80: 02464742
	v_add_f32_e32 v35, v67, v35                                // 000000003A84: 02464743
	v_add_f32_e32 v35, v68, v35                                // 000000003A88: 02464744
	v_add_f32_e32 v35, v69, v35                                // 000000003A8C: 02464745
	v_add_f32_e32 v35, v70, v35                                // 000000003A90: 02464746
	v_add_f32_e32 v35, v71, v35                                // 000000003A94: 02464747
	v_add_f32_e32 v35, v72, v35                                // 000000003A98: 02464748
	v_add_f32_e32 v35, v73, v35                                // 000000003A9C: 02464749
	v_add_f32_e32 v35, v74, v35                                // 000000003AA0: 0246474A
	v_add_f32_e32 v35, v75, v35                                // 000000003AA4: 0246474B
	v_add_f32_e32 v4, v35, v4                                  // 000000003AA8: 02080923
	v_cvt_pk_fp8_f32 v60, v60, v61                             // 000000003AAC: D2A2003C 00027B3C
	v_cvt_pk_fp8_f32 v60, v62, v63 op_sel:[0,0,1]              // 000000003AB4: D2A2403C 00027F3E
	v_cvt_pk_fp8_f32 v61, v64, v65                             // 000000003ABC: D2A2003D 00028340
	v_cvt_pk_fp8_f32 v61, v66, v67 op_sel:[0,0,1]              // 000000003AC4: D2A2403D 00028742
	v_cvt_pk_fp8_f32 v62, v68, v69                             // 000000003ACC: D2A2003E 00028B44
	v_cvt_pk_fp8_f32 v62, v70, v71 op_sel:[0,0,1]              // 000000003AD4: D2A2403E 00028F46
	v_cvt_pk_fp8_f32 v63, v72, v73                             // 000000003ADC: D2A2003F 00029348
	v_cvt_pk_fp8_f32 v63, v74, v75 op_sel:[0,0,1]              // 000000003AE4: D2A2403F 0002974A
	s_waitcnt lgkmcnt(8)                                       // 000000003AEC: BF8CC87F
	v_mfma_f32_32x32x64_f8f6f4 v[44:59], a[72:79], a[0:7], 0   // 000000003AF0: D3AE002C 1A020148
	ds_write_b128 v43, v[60:63] offset:1024                    // 000000003AF8: D9BE0400 00003C2B
	buffer_load_dword v32, v34, s[24:27], 0 offen              // 000000003B00: E0501000 80062022
	buffer_load_dwordx4 v217, s[20:23], 0 offen offset:256 lds // 000000003B08: E05D1100 800500D9
	s_add_i32 m0, m0, 0x3c0                                    // 000000003B10: 817CFF7C 000003C0
	v_mul_f32_e32 v76, v21, v76                                // 000000003B18: 0A989915
	v_mul_f32_e32 v77, v21, v77                                // 000000003B1C: 0A9A9B15
	v_mul_f32_e32 v78, v21, v78                                // 000000003B20: 0A9C9D15
	v_mul_f32_e32 v79, v21, v79                                // 000000003B24: 0A9E9F15
	v_mul_f32_e32 v80, v21, v80                                // 000000003B28: 0AA0A115
	v_mul_f32_e32 v81, v21, v81                                // 000000003B2C: 0AA2A315
	v_mul_f32_e32 v82, v21, v82                                // 000000003B30: 0AA4A515
	v_mul_f32_e32 v83, v21, v83                                // 000000003B34: 0AA6A715
	v_mul_f32_e32 v84, v21, v84                                // 000000003B38: 0AA8A915
	v_mfma_f32_32x32x64_f8f6f4 v[44:59], a[80:87], a[8:15], v[44:59]// 000000003B3C: D3AE002C 1CB21150
	ds_read_b64_tr_b8 a[72:73], v13                            // 000000003B44: DBC40000 4800000D
	ds_read_b64_tr_b8 a[74:75], v14                            // 000000003B4C: DBC40000 4A00000E
	ds_read_b64_tr_b8 a[76:77], v13 offset:18432               // 000000003B54: DBC44800 4C00000D
	ds_read_b64_tr_b8 a[78:79], v14 offset:18432               // 000000003B5C: DBC44800 4E00000E
	ds_read_b64_tr_b8 a[80:81], v15                            // 000000003B64: DBC40000 5000000F
	ds_read_b64_tr_b8 a[82:83], v16                            // 000000003B6C: DBC40000 52000010
	ds_read_b64_tr_b8 a[84:85], v15 offset:18432               // 000000003B74: DBC44800 5400000F
	ds_read_b64_tr_b8 a[86:87], v16 offset:18432               // 000000003B7C: DBC44800 56000010
	v_mul_f32_e32 v85, v21, v85                                // 000000003B84: 0AAAAB15
	v_mul_f32_e32 v86, v21, v86                                // 000000003B88: 0AACAD15
	v_mul_f32_e32 v87, v21, v87                                // 000000003B8C: 0AAEAF15
	v_mul_f32_e32 v88, v21, v88                                // 000000003B90: 0AB0B115
	v_mul_f32_e32 v89, v21, v89                                // 000000003B94: 0AB2B315
	v_mul_f32_e32 v90, v21, v90                                // 000000003B98: 0AB4B515
	v_mul_f32_e32 v91, v21, v91                                // 000000003B9C: 0AB6B715
	v_mul_f32_e32 v92, v21, v92                                // 000000003BA0: 0AB8B915
	v_mul_f32_e32 v93, v21, v93                                // 000000003BA4: 0ABABB15
	v_mul_f32_e32 v94, v21, v94                                // 000000003BA8: 0ABCBD15
	v_mul_f32_e32 v95, v21, v95                                // 000000003BAC: 0ABEBF15
	v_mul_f32_e32 v96, v21, v96                                // 000000003BB0: 0AC0C115
	s_waitcnt lgkmcnt(0)                                       // 000000003BB4: BF8CC07F
	s_barrier                                                  // 000000003BB8: BF8A0000
	v_mfma_f32_32x32x64_f8f6f4 v[44:59], a[88:95], a[16:23], v[44:59]// 000000003BBC: D3AE002C 1CB22158
	ds_read_b128 v[60:63], v42 offset:1024                     // 000000003BC4: D9FE0400 3C00002A
	ds_read_b128 v[64:67], v42 offset:2048                     // 000000003BCC: D9FE0800 4000002A
	buffer_load_dwordx4 v217, s[20:23], 0 offen offset:320 lds // 000000003BD4: E05D1140 800500D9
	s_add_i32 m0, m0, 0x3c0                                    // 000000003BDC: 817CFF7C 000003C0
	v_mul_f32_e32 v97, v21, v97                                // 000000003BE4: 0AC2C315
	v_mul_f32_e32 v98, v21, v98                                // 000000003BE8: 0AC4C515
	v_mul_f32_e32 v99, v21, v99                                // 000000003BEC: 0AC6C715
	v_mul_f32_e32 v100, v21, v100                              // 000000003BF0: 0AC8C915
	v_mul_f32_e32 v101, v21, v101                              // 000000003BF4: 0ACACB15
	v_mul_f32_e32 v102, v21, v102                              // 000000003BF8: 0ACCCD15
	v_mul_f32_e32 v103, v21, v103                              // 000000003BFC: 0ACECF15
	v_mul_f32_e32 v104, v21, v104                              // 000000003C00: 0AD0D115
	v_mul_f32_e32 v105, v21, v105                              // 000000003C04: 0AD2D315
	v_mul_f32_e32 v106, v21, v106                              // 000000003C08: 0AD4D515
	v_mul_f32_e32 v107, v21, v107                              // 000000003C0C: 0AD6D715
	v_mul_f32_e32 v108, v21, v108                              // 000000003C10: 0AD8D915
	v_add_u32_e32 v34, s73, v34                                // 000000003C14: 68444449
	v_mfma_f32_32x32x64_f8f6f4 v[44:59], a[96:103], a[24:31], v[44:59]// 000000003C18: D3AE002C 1CB23160
	ds_read_b64_tr_b8 a[88:89], v13 offset:1024                // 000000003C20: DBC40400 5800000D
	ds_read_b64_tr_b8 a[90:91], v14 offset:1024                // 000000003C28: DBC40400 5A00000E
	ds_read_b64_tr_b8 a[92:93], v13 offset:19456               // 000000003C30: DBC44C00 5C00000D
	ds_read_b64_tr_b8 a[94:95], v14 offset:19456               // 000000003C38: DBC44C00 5E00000E
	ds_read_b64_tr_b8 a[96:97], v15 offset:1024                // 000000003C40: DBC40400 6000000F
	ds_read_b64_tr_b8 a[98:99], v16 offset:1024                // 000000003C48: DBC40400 62000010
	ds_read_b64_tr_b8 a[100:101], v15 offset:19456             // 000000003C50: DBC44C00 6400000F
	ds_read_b64_tr_b8 a[102:103], v16 offset:19456             // 000000003C58: DBC44C00 66000010
	v_mul_f32_e32 v109, v21, v109                              // 000000003C60: 0ADADB15
	v_mul_f32_e32 v110, v21, v110                              // 000000003C64: 0ADCDD15
	v_mul_f32_e32 v111, v21, v111                              // 000000003C68: 0ADEDF15
	v_mul_f32_e32 v112, v21, v112                              // 000000003C6C: 0AE0E115
	v_mul_f32_e32 v113, v21, v113                              // 000000003C70: 0AE2E315
	v_mul_f32_e32 v114, v21, v114                              // 000000003C74: 0AE4E515
	v_mul_f32_e32 v115, v21, v115                              // 000000003C78: 0AE6E715
	v_mul_f32_e32 v116, v21, v116                              // 000000003C7C: 0AE8E915
	v_mul_f32_e32 v117, v21, v117                              // 000000003C80: 0AEAEB15
	v_mul_f32_e32 v118, v21, v118                              // 000000003C84: 0AECED15
	v_mul_f32_e32 v119, v21, v119                              // 000000003C88: 0AEEEF15
	v_mul_f32_e32 v120, v21, v120                              // 000000003C8C: 0AF0F115
	v_mfma_f32_32x32x64_f8f6f4 v[44:59], a[104:111], a[32:39], v[44:59]// 000000003C90: D3AE002C 1CB24168
	buffer_load_dwordx4 v217, s[20:23], 0 offen offset:384 lds // 000000003C98: E05D1180 800500D9
	s_add_i32 m0, m0, 0x3c0                                    // 000000003CA0: 817CFF7C 000003C0
	v_mul_f32_e32 v121, v21, v121                              // 000000003CA8: 0AF2F315
	v_mul_f32_e32 v122, v21, v122                              // 000000003CAC: 0AF4F515
	v_mul_f32_e32 v123, v21, v123                              // 000000003CB0: 0AF6F715
	v_mul_f32_e32 v124, v21, v124                              // 000000003CB4: 0AF8F915
	v_mul_f32_e32 v125, v21, v125                              // 000000003CB8: 0AFAFB15
	v_mul_f32_e32 v126, v21, v126                              // 000000003CBC: 0AFCFD15
	v_mul_f32_e32 v127, v21, v127                              // 000000003CC0: 0AFEFF15
	v_mul_f32_e32 v128, v21, v128                              // 000000003CC4: 0B010115
	v_mul_f32_e32 v129, v21, v129                              // 000000003CC8: 0B030315
	v_mul_f32_e32 v130, v21, v130                              // 000000003CCC: 0B050515
	v_mul_f32_e32 v131, v21, v131                              // 000000003CD0: 0B070715
	v_mul_f32_e32 v132, v21, v132                              // 000000003CD4: 0B090915
	v_mfma_f32_32x32x64_f8f6f4 v[44:59], a[112:119], a[40:47], v[44:59]// 000000003CD8: D3AE002C 1CB25170
	s_waitcnt lgkmcnt(0)                                       // 000000003CE0: BF8CC07F
	ds_read_b64_tr_b8 a[104:105], v13 offset:2048              // 000000003CE4: DBC40800 6800000D
	ds_read_b64_tr_b8 a[106:107], v14 offset:2048              // 000000003CEC: DBC40800 6A00000E
	ds_read_b64_tr_b8 a[108:109], v13 offset:20480             // 000000003CF4: DBC45000 6C00000D
	ds_read_b64_tr_b8 a[110:111], v14 offset:20480             // 000000003CFC: DBC45000 6E00000E
	ds_read_b64_tr_b8 a[112:113], v15 offset:2048              // 000000003D04: DBC40800 7000000F
	ds_read_b64_tr_b8 a[114:115], v16 offset:2048              // 000000003D0C: DBC40800 72000010
	ds_read_b64_tr_b8 a[116:117], v15 offset:20480             // 000000003D14: DBC45000 7400000F
	ds_read_b64_tr_b8 a[118:119], v16 offset:20480             // 000000003D1C: DBC45000 76000010
	v_mul_f32_e32 v133, v21, v133                              // 000000003D24: 0B0B0B15
	v_mul_f32_e32 v134, v21, v134                              // 000000003D28: 0B0D0D15
	v_mul_f32_e32 v135, v21, v135                              // 000000003D2C: 0B0F0F15
	v_mul_f32_e32 v136, v21, v136                              // 000000003D30: 0B111115
	v_mul_f32_e32 v137, v21, v137                              // 000000003D34: 0B131315
	v_mul_f32_e32 v138, v21, v138                              // 000000003D38: 0B151515
	v_mul_f32_e32 v139, v21, v139                              // 000000003D3C: 0B171715
	v_mfma_f32_32x32x64_f8f6f4 v[44:59], a[120:127], a[48:55], v[44:59]// 000000003D40: D3AE002C 1CB26178
	buffer_load_dwordx4 v217, s[20:23], 0 offen offset:448 lds // 000000003D48: E05D11C0 800500D9
	s_add_i32 m0, m0, 0x3c0                                    // 000000003D50: 817CFF7C 000003C0
	v_permlane32_swap_b32_e32 v60, v62                         // 000000003D58: 7E78B53E
	v_permlane32_swap_b32_e32 v61, v63                         // 000000003D5C: 7E7AB53F
	v_swap_b32 v61, v62                                        // 000000003D60: 7E7AA33E
	v_permlane32_swap_b32_e32 v64, v66                         // 000000003D64: 7E80B542
	v_permlane32_swap_b32_e32 v65, v67                         // 000000003D68: 7E82B543
	v_swap_b32 v65, v66                                        // 000000003D6C: 7E82A342
	v_mfma_f32_32x32x64_f8f6f4 v[44:59], a[128:135], a[56:63], v[44:59]// 000000003D70: D3AE002C 1CB27180
	ds_read_b64_tr_b8 a[120:121], v13 offset:3072              // 000000003D78: DBC40C00 7800000D
	ds_read_b64_tr_b8 a[122:123], v14 offset:3072              // 000000003D80: DBC40C00 7A00000E
	ds_read_b64_tr_b8 a[124:125], v13 offset:21504             // 000000003D88: DBC45400 7C00000D
	ds_read_b64_tr_b8 a[126:127], v14 offset:21504             // 000000003D90: DBC45400 7E00000E
	ds_read_b64_tr_b8 a[128:129], v15 offset:3072              // 000000003D98: DBC40C00 8000000F
	ds_read_b64_tr_b8 a[130:131], v16 offset:3072              // 000000003DA0: DBC40C00 82000010
	ds_read_b64_tr_b8 a[132:133], v15 offset:21504             // 000000003DA8: DBC45400 8400000F
	ds_read_b64_tr_b8 a[134:135], v16 offset:21504             // 000000003DB0: DBC45400 86000010
	v_mov_b32_e32 v36, v21                                     // 000000003DB8: 7E480315
	v_mov_b32_e32 v37, v21                                     // 000000003DBC: 7E4A0315
	v_pk_mul_f32 v[140:141], v[36:37], v[140:141]              // 000000003DC0: D3B1408C 18031924
	v_pk_mul_f32 v[142:143], v[36:37], v[142:143]              // 000000003DC8: D3B1408E 18031D24
	v_pk_mul_f32 v[144:145], v[36:37], v[144:145]              // 000000003DD0: D3B14090 18032124
	v_pk_mul_f32 v[146:147], v[36:37], v[146:147]              // 000000003DD8: D3B14092 18032524
	v_pk_mul_f32 v[148:149], v[36:37], v[148:149]              // 000000003DE0: D3B14094 18032924
	v_pk_mul_f32 v[150:151], v[36:37], v[150:151]              // 000000003DE8: D3B14096 18032D24
	v_pk_mul_f32 v[152:153], v[36:37], v[152:153]              // 000000003DF0: D3B14098 18033124
	v_pk_mul_f32 v[154:155], v[36:37], v[154:155]              // 000000003DF8: D3B1409A 18033524
	v_pk_mul_f32 v[156:157], v[36:37], v[156:157]              // 000000003E00: D3B1409C 18033924
	v_pk_mul_f32 v[158:159], v[36:37], v[158:159]              // 000000003E08: D3B1409E 18033D24
	v_pk_mul_f32 v[160:161], v[36:37], v[160:161]              // 000000003E10: D3B140A0 18034124
	v_pk_mul_f32 v[162:163], v[36:37], v[162:163]              // 000000003E18: D3B140A2 18034524
	v_pk_mul_f32 v[164:165], v[36:37], v[164:165]              // 000000003E20: D3B140A4 18034924
	v_pk_mul_f32 v[166:167], v[36:37], v[166:167]              // 000000003E28: D3B140A6 18034D24
	v_pk_mul_f32 v[168:169], v[36:37], v[168:169]              // 000000003E30: D3B140A8 18035124
	v_pk_mul_f32 v[170:171], v[36:37], v[170:171]              // 000000003E38: D3B140AA 18035524
	v_pk_mul_f32 v[172:173], v[36:37], v[172:173]              // 000000003E40: D3B140AC 18035924
	v_pk_mul_f32 v[174:175], v[36:37], v[174:175]              // 000000003E48: D3B140AE 18035D24
	v_pk_mul_f32 v[176:177], v[36:37], v[176:177]              // 000000003E50: D3B140B0 18036124
	v_pk_mul_f32 v[178:179], v[36:37], v[178:179]              // 000000003E58: D3B140B2 18036524
	v_pk_mul_f32 v[180:181], v[36:37], v[180:181]              // 000000003E60: D3B140B4 18036924
	v_pk_mul_f32 v[182:183], v[36:37], v[182:183]              // 000000003E68: D3B140B6 18036D24
	v_pk_mul_f32 v[184:185], v[36:37], v[184:185]              // 000000003E70: D3B140B8 18037124
	v_pk_mul_f32 v[186:187], v[36:37], v[186:187]              // 000000003E78: D3B140BA 18037524
	v_pk_mul_f32 v[188:189], v[36:37], v[188:189]              // 000000003E80: D3B140BC 18037924
	v_pk_mul_f32 v[190:191], v[36:37], v[190:191]              // 000000003E88: D3B140BE 18037D24
	v_pk_mul_f32 v[192:193], v[36:37], v[192:193]              // 000000003E90: D3B140C0 18038124
	v_pk_mul_f32 v[194:195], v[36:37], v[194:195]              // 000000003E98: D3B140C2 18038524
	v_pk_mul_f32 v[196:197], v[36:37], v[196:197]              // 000000003EA0: D3B140C4 18038924
	v_pk_mul_f32 v[198:199], v[36:37], v[198:199]              // 000000003EA8: D3B140C6 18038D24
	v_pk_mul_f32 v[200:201], v[36:37], v[200:201]              // 000000003EB0: D3B140C8 18039124
	v_pk_mul_f32 v[202:203], v[36:37], v[202:203]              // 000000003EB8: D3B140CA 18039524
	v_mfma_f32_32x32x64_f8f6f4 v[44:59], a[136:143], a[64:71], v[44:59]// 000000003EC0: D3AE002C 1CB28188
	buffer_load_dwordx4 v217, s[20:23], 0 offen offset:512 lds // 000000003EC8: E05D1200 800500D9
	s_add_i32 m0, m0, 0x3c0                                    // 000000003ED0: 817CFF7C 000003C0
	s_addk_i32 s70, 0x1                                        // 000000003ED8: B7460001
	s_cmp_lt_i32 s70, s71                                      // 000000003EDC: BF044746
	s_cbranch_scc0 label_3184                                  // 000000003EE0: BF840568
	v_mul_u32_u24_e64 v217, v31, s68                           // 000000003EE4: D10800D9 0000891F
	v_add_u32_e32 v217, v217, v1                               // 000000003EEC: 69B203D9
	s_waitcnt vmcnt(10)                                        // 000000003EF0: BF8C0F7A
	s_barrier                                                  // 000000003EF4: BF8A0000
	s_waitcnt lgkmcnt(8)                                       // 000000003EF8: BF8CC87F
	v_mfma_f32_32x32x64_f8f6f4 v[76:91], a[72:79], v[60:67], v[76:91]// 000000003EFC: D3AE004C 0D327948
	ds_read_b128 a[72:75], v22                                 // 000000003F04: DBFE0000 48000016
	ds_read_b128 a[76:79], v23                                 // 000000003F0C: DBFE0000 4C000017
	v_mov_b32_e32 v213, v44                                    // 000000003F14: 7FAA032C
	v_max3_f32 v213, v44, v45, v213                            // 000000003F18: D1D300D5 07565B2C
	v_max3_f32 v213, v46, v47, v213                            // 000000003F20: D1D300D5 07565F2E
	v_max3_f32 v213, v48, v49, v213                            // 000000003F28: D1D300D5 07566330
	v_max3_f32 v213, v50, v51, v213                            // 000000003F30: D1D300D5 07566732
	v_max3_f32 v213, v52, v53, v213                            // 000000003F38: D1D300D5 07566B34
	v_max3_f32 v213, v54, v55, v213                            // 000000003F40: D1D300D5 07566F36
	v_max3_f32 v213, v56, v57, v213                            // 000000003F48: D1D300D5 07567338
	v_max3_f32 v213, v58, v59, v213                            // 000000003F50: D1D300D5 0756773A
	v_mov_b32_e32 v35, v213                                    // 000000003F58: 7E4603D5
	v_mov_b32_e32 v36, v213                                    // 000000003F5C: 7E4803D5
	s_nop 0                                                    // 000000003F60: BF800000
	v_mfma_f32_32x32x64_f8f6f4 v[92:107], a[80:87], v[60:67], v[92:107]// 000000003F64: D3AE005C 0D727950
	v_permlane32_swap_b32_e32 v35, v36                         // 000000003F6C: 7E46B524
	v_max3_f32 v213, v35, v36, v213                            // 000000003F70: D1D300D5 07564923
	ds_write_b32 v41, v213                                     // 000000003F78: D81A0000 0000D529
	s_mov_b32 s56, 0x14000                                     // 000000003F80: BEB800FF 00014000
	s_mul_i32 s57, s7, 0x2400                                  // 000000003F88: 9239FF07 00002400
	s_add_u32 m0, s56, s57                                     // 000000003F90: 807C3938
	buffer_load_dwordx4 v217, s[20:23], 0 offen lds            // 000000003F94: E05D1000 800500D9
	s_add_i32 m0, m0, 0x3c0                                    // 000000003F9C: 817CFF7C 000003C0
	buffer_load_dwordx4 v217, s[20:23], 0 offen offset:64 lds  // 000000003FA4: E05D1040 800500D9
	s_add_i32 m0, m0, 0x3c0                                    // 000000003FAC: 817CFF7C 000003C0
	s_waitcnt lgkmcnt(0)                                       // 000000003FB4: BF8CC07F
	s_barrier                                                  // 000000003FB8: BF8A0000
	v_mfma_f32_32x32x64_f8f6f4 v[108:123], a[88:95], v[60:67], v[108:123]// 000000003FBC: D3AE006C 0DB27958
	ds_read_b32 v35, v40                                       // 000000003FC4: D86C0000 23000028
	ds_read_b32 v36, v40 offset:256                            // 000000003FCC: D86C0100 24000028
	s_waitcnt lgkmcnt(0)                                       // 000000003FD4: BF8CC07F
	v_max3_f32 v213, v35, v36, v213                            // 000000003FD8: D1D300D5 07564923
	v_mov_b32_e32 v35, 0xff800000                              // 000000003FE0: 7E4602FF FF800000
	v_cmp_eq_u32_e64 s[36:37], v35, v2                         // 000000003FE8: D0CA0024 00020523
	v_max_f32_e32 v216, v213, v2                               // 000000003FF0: 17B005D5
	v_sub_f32_e32 v21, v2, v216                                // 000000003FF4: 042BB102
	v_cndmask_b32_e64 v21, v21, 0, s[36:37]                    // 000000003FF8: D1000015 00910115
	v_mfma_f32_32x32x64_f8f6f4 v[124:139], a[96:103], v[60:67], v[124:139]// 000000004000: D3AE007C 0DF27960
	buffer_load_dwordx4 v217, s[20:23], 0 offen offset:128 lds // 000000004008: E05D1080 800500D9
	s_add_i32 m0, m0, 0x3c0                                    // 000000004010: 817CFF7C 000003C0
	v_mov_b32_e32 v2, v216                                     // 000000004018: 7E0403D8
	v_mul_f32_e32 v212, s5, v216                               // 00000000401C: 0BA9B005
	v_mul_f32_e32 v21, s5, v21                                 // 000000004020: 0A2A2A05
	v_exp_f32_e32 v21, v21                                     // 000000004024: 7E2A4115
	v_fma_f32 v44, v44, s5, -v212                              // 000000004028: D1CB002C 87500B2C
	v_fma_f32 v45, v45, s5, -v212                              // 000000004030: D1CB002D 87500B2D
	v_fma_f32 v46, v46, s5, -v212                              // 000000004038: D1CB002E 87500B2E
	v_fma_f32 v47, v47, s5, -v212                              // 000000004040: D1CB002F 87500B2F
	v_fma_f32 v48, v48, s5, -v212                              // 000000004048: D1CB0030 87500B30
	v_fma_f32 v49, v49, s5, -v212                              // 000000004050: D1CB0031 87500B31
	v_fma_f32 v50, v50, s5, -v212                              // 000000004058: D1CB0032 87500B32
	v_fma_f32 v51, v51, s5, -v212                              // 000000004060: D1CB0033 87500B33
	v_fma_f32 v52, v52, s5, -v212                              // 000000004068: D1CB0034 87500B34
	v_mfma_f32_32x32x64_f8f6f4 v[140:155], a[104:111], v[60:67], v[140:155]// 000000004070: D3AE008C 0E327968
	ds_read_b128 a[80:83], v22 offset:1024                     // 000000004078: DBFE0400 50000016
	ds_read_b128 a[84:87], v23 offset:1024                     // 000000004080: DBFE0400 54000017
	ds_read_b128 a[88:91], v22 offset:2048                     // 000000004088: DBFE0800 58000016
	ds_read_b128 a[92:95], v23 offset:2048                     // 000000004090: DBFE0800 5C000017
	ds_read_b128 a[96:99], v22 offset:3072                     // 000000004098: DBFE0C00 60000016
	ds_read_b128 a[100:103], v23 offset:3072                   // 0000000040A0: DBFE0C00 64000017
	v_fma_f32 v53, v53, s5, -v212                              // 0000000040A8: D1CB0035 87500B35
	v_fma_f32 v54, v54, s5, -v212                              // 0000000040B0: D1CB0036 87500B36
	v_fma_f32 v55, v55, s5, -v212                              // 0000000040B8: D1CB0037 87500B37
	v_fma_f32 v56, v56, s5, -v212                              // 0000000040C0: D1CB0038 87500B38
	v_fma_f32 v57, v57, s5, -v212                              // 0000000040C8: D1CB0039 87500B39
	v_fma_f32 v58, v58, s5, -v212                              // 0000000040D0: D1CB003A 87500B3A
	v_fma_f32 v59, v59, s5, -v212                              // 0000000040D8: D1CB003B 87500B3B
	v_exp_f32_e32 v44, v44                                     // 0000000040E0: 7E58412C
	v_exp_f32_e32 v45, v45                                     // 0000000040E4: 7E5A412D
	v_mfma_f32_32x32x64_f8f6f4 v[156:171], a[112:119], v[60:67], v[156:171]// 0000000040E8: D3AE009C 0E727970
	buffer_load_dwordx4 v217, s[20:23], 0 offen offset:192 lds // 0000000040F0: E05D10C0 800500D9
	s_add_i32 m0, m0, 0x3c0                                    // 0000000040F8: 817CFF7C 000003C0
	v_exp_f32_e32 v46, v46                                     // 000000004100: 7E5C412E
	v_exp_f32_e32 v47, v47                                     // 000000004104: 7E5E412F
	v_exp_f32_e32 v48, v48                                     // 000000004108: 7E604130
	v_exp_f32_e32 v49, v49                                     // 00000000410C: 7E624131
	v_exp_f32_e32 v50, v50                                     // 000000004110: 7E644132
	v_exp_f32_e32 v51, v51                                     // 000000004114: 7E664133
	v_exp_f32_e32 v52, v52                                     // 000000004118: 7E684134
	v_mfma_f32_32x32x64_f8f6f4 v[172:187], a[120:127], v[60:67], v[172:187]// 00000000411C: D3AE00AC 0EB27978
	ds_read_b128 a[104:107], v22 offset:4096                   // 000000004124: DBFE1000 68000016
	ds_read_b128 a[108:111], v23 offset:4096                   // 00000000412C: DBFE1000 6C000017
	ds_read_b128 a[112:115], v22 offset:5120                   // 000000004134: DBFE1400 70000016
	ds_read_b128 a[116:119], v23 offset:5120                   // 00000000413C: DBFE1400 74000017
	ds_read_b128 a[120:123], v22 offset:6144                   // 000000004144: DBFE1800 78000016
	ds_read_b128 a[124:127], v23 offset:6144                   // 00000000414C: DBFE1800 7C000017
	v_exp_f32_e32 v53, v53                                     // 000000004154: 7E6A4135
	v_exp_f32_e32 v54, v54                                     // 000000004158: 7E6C4136
	v_exp_f32_e32 v55, v55                                     // 00000000415C: 7E6E4137
	v_exp_f32_e32 v56, v56                                     // 000000004160: 7E704138
	v_exp_f32_e32 v57, v57                                     // 000000004164: 7E724139
	v_mfma_f32_32x32x64_f8f6f4 v[188:203], a[128:135], v[60:67], v[188:203]// 000000004168: D3AE00BC 0EF27980
	ds_read_b128 a[128:131], v22 offset:7168                   // 000000004170: DBFE1C00 80000016
	ds_read_b128 a[132:135], v23 offset:7168                   // 000000004178: DBFE1C00 84000017
	ds_read_b128 a[136:139], v22 offset:8192                   // 000000004180: DBFE2000 88000016
	ds_read_b128 a[140:143], v23 offset:8192                   // 000000004188: DBFE2000 8C000017
	v_exp_f32_e32 v58, v58                                     // 000000004190: 7E74413A
	v_exp_f32_e32 v59, v59                                     // 000000004194: 7E76413B
	v_mul_f32_e32 v4, v21, v4                                  // 000000004198: 0A080915
	v_mov_b32_e32 v35, v44                                     // 00000000419C: 7E46032C
	v_add_f32_e32 v35, v45, v35                                // 0000000041A0: 0246472D
	v_add_f32_e32 v35, v46, v35                                // 0000000041A4: 0246472E
	v_add_f32_e32 v35, v47, v35                                // 0000000041A8: 0246472F
	v_add_f32_e32 v35, v48, v35                                // 0000000041AC: 02464730
	v_add_f32_e32 v35, v49, v35                                // 0000000041B0: 02464731
	v_add_f32_e32 v35, v50, v35                                // 0000000041B4: 02464732
	v_add_f32_e32 v35, v51, v35                                // 0000000041B8: 02464733
	v_add_f32_e32 v35, v52, v35                                // 0000000041BC: 02464734
	v_add_f32_e32 v35, v53, v35                                // 0000000041C0: 02464735
	v_add_f32_e32 v35, v54, v35                                // 0000000041C4: 02464736
	v_add_f32_e32 v35, v55, v35                                // 0000000041C8: 02464737
	v_add_f32_e32 v35, v56, v35                                // 0000000041CC: 02464738
	v_add_f32_e32 v35, v57, v35                                // 0000000041D0: 02464739
	v_add_f32_e32 v35, v58, v35                                // 0000000041D4: 0246473A
	v_add_f32_e32 v35, v59, v35                                // 0000000041D8: 0246473B
	v_add_f32_e32 v4, v35, v4                                  // 0000000041DC: 02080923
	v_cvt_pk_fp8_f32 v44, v44, v45                             // 0000000041E0: D2A2002C 00025B2C
	v_cvt_pk_fp8_f32 v44, v46, v47 op_sel:[0,0,1]              // 0000000041E8: D2A2402C 00025F2E
	v_cvt_pk_fp8_f32 v45, v48, v49                             // 0000000041F0: D2A2002D 00026330
	v_cvt_pk_fp8_f32 v45, v50, v51 op_sel:[0,0,1]              // 0000000041F8: D2A2402D 00026732
	v_cvt_pk_fp8_f32 v46, v52, v53                             // 000000004200: D2A2002E 00026B34
	v_cvt_pk_fp8_f32 v46, v54, v55 op_sel:[0,0,1]              // 000000004208: D2A2402E 00026F36
	v_cvt_pk_fp8_f32 v47, v56, v57                             // 000000004210: D2A2002F 00027338
	v_cvt_pk_fp8_f32 v47, v58, v59 op_sel:[0,0,1]              // 000000004218: D2A2402F 0002773A
	s_waitcnt lgkmcnt(8)                                       // 000000004220: BF8CC87F
	v_mfma_f32_32x32x64_f8f6f4 v[60:75], a[72:79], a[0:7], 0   // 000000004224: D3AE003C 1A020148
	ds_write_b128 v43, v[44:47] offset:1024                    // 00000000422C: D9BE0400 00002C2B
	buffer_load_dword v33, v34, s[24:27], 0 offen              // 000000004234: E0501000 80062122
	buffer_load_dwordx4 v217, s[20:23], 0 offen offset:256 lds // 00000000423C: E05D1100 800500D9
	s_add_i32 m0, m0, 0x3c0                                    // 000000004244: 817CFF7C 000003C0
	v_mul_f32_e32 v76, v21, v76                                // 00000000424C: 0A989915
	v_mul_f32_e32 v77, v21, v77                                // 000000004250: 0A9A9B15
	v_mul_f32_e32 v78, v21, v78                                // 000000004254: 0A9C9D15
	v_mul_f32_e32 v79, v21, v79                                // 000000004258: 0A9E9F15
	v_mul_f32_e32 v80, v21, v80                                // 00000000425C: 0AA0A115
	v_mul_f32_e32 v81, v21, v81                                // 000000004260: 0AA2A315
	v_mul_f32_e32 v82, v21, v82                                // 000000004264: 0AA4A515
	v_mul_f32_e32 v83, v21, v83                                // 000000004268: 0AA6A715
	v_mul_f32_e32 v84, v21, v84                                // 00000000426C: 0AA8A915
	v_mfma_f32_32x32x64_f8f6f4 v[60:75], a[80:87], a[8:15], v[60:75]// 000000004270: D3AE003C 1CF21150
	ds_read_b64_tr_b8 a[72:73], v17                            // 000000004278: DBC40000 48000011
	ds_read_b64_tr_b8 a[74:75], v18                            // 000000004280: DBC40000 4A000012
	ds_read_b64_tr_b8 a[76:77], v17 offset:18432               // 000000004288: DBC44800 4C000011
	ds_read_b64_tr_b8 a[78:79], v18 offset:18432               // 000000004290: DBC44800 4E000012
	ds_read_b64_tr_b8 a[80:81], v19                            // 000000004298: DBC40000 50000013
	ds_read_b64_tr_b8 a[82:83], v20                            // 0000000042A0: DBC40000 52000014
	ds_read_b64_tr_b8 a[84:85], v19 offset:18432               // 0000000042A8: DBC44800 54000013
	ds_read_b64_tr_b8 a[86:87], v20 offset:18432               // 0000000042B0: DBC44800 56000014
	v_mul_f32_e32 v85, v21, v85                                // 0000000042B8: 0AAAAB15
	v_mul_f32_e32 v86, v21, v86                                // 0000000042BC: 0AACAD15
	v_mul_f32_e32 v87, v21, v87                                // 0000000042C0: 0AAEAF15
	v_mul_f32_e32 v88, v21, v88                                // 0000000042C4: 0AB0B115
	v_mul_f32_e32 v89, v21, v89                                // 0000000042C8: 0AB2B315
	v_mul_f32_e32 v90, v21, v90                                // 0000000042CC: 0AB4B515
	v_mul_f32_e32 v91, v21, v91                                // 0000000042D0: 0AB6B715
	v_mul_f32_e32 v92, v21, v92                                // 0000000042D4: 0AB8B915
	v_mul_f32_e32 v93, v21, v93                                // 0000000042D8: 0ABABB15
	v_mul_f32_e32 v94, v21, v94                                // 0000000042DC: 0ABCBD15
	v_mul_f32_e32 v95, v21, v95                                // 0000000042E0: 0ABEBF15
	v_mul_f32_e32 v96, v21, v96                                // 0000000042E4: 0AC0C115
	s_waitcnt lgkmcnt(0)                                       // 0000000042E8: BF8CC07F
	s_barrier                                                  // 0000000042EC: BF8A0000
	v_mfma_f32_32x32x64_f8f6f4 v[60:75], a[88:95], a[16:23], v[60:75]// 0000000042F0: D3AE003C 1CF22158
	ds_read_b128 v[44:47], v42 offset:1024                     // 0000000042F8: D9FE0400 2C00002A
	ds_read_b128 v[48:51], v42 offset:2048                     // 000000004300: D9FE0800 3000002A
	buffer_load_dwordx4 v217, s[20:23], 0 offen offset:320 lds // 000000004308: E05D1140 800500D9
	s_add_i32 m0, m0, 0x3c0                                    // 000000004310: 817CFF7C 000003C0
	v_mul_f32_e32 v97, v21, v97                                // 000000004318: 0AC2C315
	v_mul_f32_e32 v98, v21, v98                                // 00000000431C: 0AC4C515
	v_mul_f32_e32 v99, v21, v99                                // 000000004320: 0AC6C715
	v_mul_f32_e32 v100, v21, v100                              // 000000004324: 0AC8C915
	v_mul_f32_e32 v101, v21, v101                              // 000000004328: 0ACACB15
	v_mul_f32_e32 v102, v21, v102                              // 00000000432C: 0ACCCD15
	v_mul_f32_e32 v103, v21, v103                              // 000000004330: 0ACECF15
	v_mul_f32_e32 v104, v21, v104                              // 000000004334: 0AD0D115
	v_mul_f32_e32 v105, v21, v105                              // 000000004338: 0AD2D315
	v_mul_f32_e32 v106, v21, v106                              // 00000000433C: 0AD4D515
	v_mul_f32_e32 v107, v21, v107                              // 000000004340: 0AD6D715
	v_mul_f32_e32 v108, v21, v108                              // 000000004344: 0AD8D915
	v_add_u32_e32 v34, s73, v34                                // 000000004348: 68444449
	v_mfma_f32_32x32x64_f8f6f4 v[60:75], a[96:103], a[24:31], v[60:75]// 00000000434C: D3AE003C 1CF23160
	ds_read_b64_tr_b8 a[88:89], v17 offset:1024                // 000000004354: DBC40400 58000011
	ds_read_b64_tr_b8 a[90:91], v18 offset:1024                // 00000000435C: DBC40400 5A000012
	ds_read_b64_tr_b8 a[92:93], v17 offset:19456               // 000000004364: DBC44C00 5C000011
	ds_read_b64_tr_b8 a[94:95], v18 offset:19456               // 00000000436C: DBC44C00 5E000012
	ds_read_b64_tr_b8 a[96:97], v19 offset:1024                // 000000004374: DBC40400 60000013
	ds_read_b64_tr_b8 a[98:99], v20 offset:1024                // 00000000437C: DBC40400 62000014
	ds_read_b64_tr_b8 a[100:101], v19 offset:19456             // 000000004384: DBC44C00 64000013
	ds_read_b64_tr_b8 a[102:103], v20 offset:19456             // 00000000438C: DBC44C00 66000014
	v_mul_f32_e32 v109, v21, v109                              // 000000004394: 0ADADB15
	v_mul_f32_e32 v110, v21, v110                              // 000000004398: 0ADCDD15
	v_mul_f32_e32 v111, v21, v111                              // 00000000439C: 0ADEDF15
	v_mul_f32_e32 v112, v21, v112                              // 0000000043A0: 0AE0E115
	v_mul_f32_e32 v113, v21, v113                              // 0000000043A4: 0AE2E315
	v_mul_f32_e32 v114, v21, v114                              // 0000000043A8: 0AE4E515
	v_mul_f32_e32 v115, v21, v115                              // 0000000043AC: 0AE6E715
	v_mul_f32_e32 v116, v21, v116                              // 0000000043B0: 0AE8E915
	v_mul_f32_e32 v117, v21, v117                              // 0000000043B4: 0AEAEB15
	v_mul_f32_e32 v118, v21, v118                              // 0000000043B8: 0AECED15
	v_mul_f32_e32 v119, v21, v119                              // 0000000043BC: 0AEEEF15
	v_mul_f32_e32 v120, v21, v120                              // 0000000043C0: 0AF0F115
	v_mfma_f32_32x32x64_f8f6f4 v[60:75], a[104:111], a[32:39], v[60:75]// 0000000043C4: D3AE003C 1CF24168
	buffer_load_dwordx4 v217, s[20:23], 0 offen offset:384 lds // 0000000043CC: E05D1180 800500D9
	s_add_i32 m0, m0, 0x3c0                                    // 0000000043D4: 817CFF7C 000003C0
	v_mul_f32_e32 v121, v21, v121                              // 0000000043DC: 0AF2F315
	v_mul_f32_e32 v122, v21, v122                              // 0000000043E0: 0AF4F515
	v_mul_f32_e32 v123, v21, v123                              // 0000000043E4: 0AF6F715
	v_mul_f32_e32 v124, v21, v124                              // 0000000043E8: 0AF8F915
	v_mul_f32_e32 v125, v21, v125                              // 0000000043EC: 0AFAFB15
	v_mul_f32_e32 v126, v21, v126                              // 0000000043F0: 0AFCFD15
	v_mul_f32_e32 v127, v21, v127                              // 0000000043F4: 0AFEFF15
	v_mul_f32_e32 v128, v21, v128                              // 0000000043F8: 0B010115
	v_mul_f32_e32 v129, v21, v129                              // 0000000043FC: 0B030315
	v_mul_f32_e32 v130, v21, v130                              // 000000004400: 0B050515
	v_mul_f32_e32 v131, v21, v131                              // 000000004404: 0B070715
	v_mul_f32_e32 v132, v21, v132                              // 000000004408: 0B090915
	v_mfma_f32_32x32x64_f8f6f4 v[60:75], a[112:119], a[40:47], v[60:75]// 00000000440C: D3AE003C 1CF25170
	s_waitcnt lgkmcnt(0)                                       // 000000004414: BF8CC07F
	ds_read_b64_tr_b8 a[104:105], v17 offset:2048              // 000000004418: DBC40800 68000011
	ds_read_b64_tr_b8 a[106:107], v18 offset:2048              // 000000004420: DBC40800 6A000012
	ds_read_b64_tr_b8 a[108:109], v17 offset:20480             // 000000004428: DBC45000 6C000011
	ds_read_b64_tr_b8 a[110:111], v18 offset:20480             // 000000004430: DBC45000 6E000012
	ds_read_b64_tr_b8 a[112:113], v19 offset:2048              // 000000004438: DBC40800 70000013
	ds_read_b64_tr_b8 a[114:115], v20 offset:2048              // 000000004440: DBC40800 72000014
	ds_read_b64_tr_b8 a[116:117], v19 offset:20480             // 000000004448: DBC45000 74000013
	ds_read_b64_tr_b8 a[118:119], v20 offset:20480             // 000000004450: DBC45000 76000014
	v_mul_f32_e32 v133, v21, v133                              // 000000004458: 0B0B0B15
	v_mul_f32_e32 v134, v21, v134                              // 00000000445C: 0B0D0D15
	v_mul_f32_e32 v135, v21, v135                              // 000000004460: 0B0F0F15
	v_mul_f32_e32 v136, v21, v136                              // 000000004464: 0B111115
	v_mul_f32_e32 v137, v21, v137                              // 000000004468: 0B131315
	v_mul_f32_e32 v138, v21, v138                              // 00000000446C: 0B151515
	v_mul_f32_e32 v139, v21, v139                              // 000000004470: 0B171715
	v_mfma_f32_32x32x64_f8f6f4 v[60:75], a[120:127], a[48:55], v[60:75]// 000000004474: D3AE003C 1CF26178
	buffer_load_dwordx4 v217, s[20:23], 0 offen offset:448 lds // 00000000447C: E05D11C0 800500D9
	s_add_i32 m0, m0, 0x3c0                                    // 000000004484: 817CFF7C 000003C0
	v_permlane32_swap_b32_e32 v44, v46                         // 00000000448C: 7E58B52E
	v_permlane32_swap_b32_e32 v45, v47                         // 000000004490: 7E5AB52F
	v_swap_b32 v45, v46                                        // 000000004494: 7E5AA32E
	v_permlane32_swap_b32_e32 v48, v50                         // 000000004498: 7E60B532
	v_permlane32_swap_b32_e32 v49, v51                         // 00000000449C: 7E62B533
	v_swap_b32 v49, v50                                        // 0000000044A0: 7E62A332
	v_mfma_f32_32x32x64_f8f6f4 v[60:75], a[128:135], a[56:63], v[60:75]// 0000000044A4: D3AE003C 1CF27180
	ds_read_b64_tr_b8 a[120:121], v17 offset:3072              // 0000000044AC: DBC40C00 78000011
	ds_read_b64_tr_b8 a[122:123], v18 offset:3072              // 0000000044B4: DBC40C00 7A000012
	ds_read_b64_tr_b8 a[124:125], v17 offset:21504             // 0000000044BC: DBC45400 7C000011
	ds_read_b64_tr_b8 a[126:127], v18 offset:21504             // 0000000044C4: DBC45400 7E000012
	ds_read_b64_tr_b8 a[128:129], v19 offset:3072              // 0000000044CC: DBC40C00 80000013
	ds_read_b64_tr_b8 a[130:131], v20 offset:3072              // 0000000044D4: DBC40C00 82000014
	ds_read_b64_tr_b8 a[132:133], v19 offset:21504             // 0000000044DC: DBC45400 84000013
	ds_read_b64_tr_b8 a[134:135], v20 offset:21504             // 0000000044E4: DBC45400 86000014
	v_mov_b32_e32 v36, v21                                     // 0000000044EC: 7E480315
	v_mov_b32_e32 v37, v21                                     // 0000000044F0: 7E4A0315
	v_pk_mul_f32 v[140:141], v[36:37], v[140:141]              // 0000000044F4: D3B1408C 18031924
	v_pk_mul_f32 v[142:143], v[36:37], v[142:143]              // 0000000044FC: D3B1408E 18031D24
	v_pk_mul_f32 v[144:145], v[36:37], v[144:145]              // 000000004504: D3B14090 18032124
	v_pk_mul_f32 v[146:147], v[36:37], v[146:147]              // 00000000450C: D3B14092 18032524
	v_pk_mul_f32 v[148:149], v[36:37], v[148:149]              // 000000004514: D3B14094 18032924
	v_pk_mul_f32 v[150:151], v[36:37], v[150:151]              // 00000000451C: D3B14096 18032D24
	v_pk_mul_f32 v[152:153], v[36:37], v[152:153]              // 000000004524: D3B14098 18033124
	v_pk_mul_f32 v[154:155], v[36:37], v[154:155]              // 00000000452C: D3B1409A 18033524
	v_pk_mul_f32 v[156:157], v[36:37], v[156:157]              // 000000004534: D3B1409C 18033924
	v_pk_mul_f32 v[158:159], v[36:37], v[158:159]              // 00000000453C: D3B1409E 18033D24
	v_pk_mul_f32 v[160:161], v[36:37], v[160:161]              // 000000004544: D3B140A0 18034124
	v_pk_mul_f32 v[162:163], v[36:37], v[162:163]              // 00000000454C: D3B140A2 18034524
	v_pk_mul_f32 v[164:165], v[36:37], v[164:165]              // 000000004554: D3B140A4 18034924
	v_pk_mul_f32 v[166:167], v[36:37], v[166:167]              // 00000000455C: D3B140A6 18034D24
	v_pk_mul_f32 v[168:169], v[36:37], v[168:169]              // 000000004564: D3B140A8 18035124
	v_pk_mul_f32 v[170:171], v[36:37], v[170:171]              // 00000000456C: D3B140AA 18035524
	v_pk_mul_f32 v[172:173], v[36:37], v[172:173]              // 000000004574: D3B140AC 18035924
	v_pk_mul_f32 v[174:175], v[36:37], v[174:175]              // 00000000457C: D3B140AE 18035D24
	v_pk_mul_f32 v[176:177], v[36:37], v[176:177]              // 000000004584: D3B140B0 18036124
	v_pk_mul_f32 v[178:179], v[36:37], v[178:179]              // 00000000458C: D3B140B2 18036524
	v_pk_mul_f32 v[180:181], v[36:37], v[180:181]              // 000000004594: D3B140B4 18036924
	v_pk_mul_f32 v[182:183], v[36:37], v[182:183]              // 00000000459C: D3B140B6 18036D24
	v_pk_mul_f32 v[184:185], v[36:37], v[184:185]              // 0000000045A4: D3B140B8 18037124
	v_pk_mul_f32 v[186:187], v[36:37], v[186:187]              // 0000000045AC: D3B140BA 18037524
	v_pk_mul_f32 v[188:189], v[36:37], v[188:189]              // 0000000045B4: D3B140BC 18037924
	v_pk_mul_f32 v[190:191], v[36:37], v[190:191]              // 0000000045BC: D3B140BE 18037D24
	v_pk_mul_f32 v[192:193], v[36:37], v[192:193]              // 0000000045C4: D3B140C0 18038124
	v_pk_mul_f32 v[194:195], v[36:37], v[194:195]              // 0000000045CC: D3B140C2 18038524
	v_pk_mul_f32 v[196:197], v[36:37], v[196:197]              // 0000000045D4: D3B140C4 18038924
	v_pk_mul_f32 v[198:199], v[36:37], v[198:199]              // 0000000045DC: D3B140C6 18038D24
	v_pk_mul_f32 v[200:201], v[36:37], v[200:201]              // 0000000045E4: D3B140C8 18039124
	v_pk_mul_f32 v[202:203], v[36:37], v[202:203]              // 0000000045EC: D3B140CA 18039524
	v_mfma_f32_32x32x64_f8f6f4 v[60:75], a[136:143], a[64:71], v[60:75]// 0000000045F4: D3AE003C 1CF28188
	buffer_load_dwordx4 v217, s[20:23], 0 offen offset:512 lds // 0000000045FC: E05D1200 800500D9
	s_add_i32 m0, m0, 0x3c0                                    // 000000004604: 817CFF7C 000003C0
	s_addk_i32 s70, 0x1                                        // 00000000460C: B7460001
	s_cmp_lt_i32 s70, s71                                      // 000000004610: BF044746
	s_cbranch_scc0 label_3184                                  // 000000004614: BF84039B
	v_mul_u32_u24_e64 v217, v32, s68                           // 000000004618: D10800D9 00008920
	v_add_u32_e32 v217, v217, v1                               // 000000004620: 69B203D9
	s_waitcnt vmcnt(10)                                        // 000000004624: BF8C0F7A
	s_barrier                                                  // 000000004628: BF8A0000
	s_waitcnt lgkmcnt(8)                                       // 00000000462C: BF8CC87F
	v_mfma_f32_32x32x64_f8f6f4 v[76:91], a[72:79], v[44:51], v[76:91]// 000000004630: D3AE004C 0D325948
	ds_read_b128 a[72:75], v24                                 // 000000004638: DBFE0000 48000018
	ds_read_b128 a[76:79], v25                                 // 000000004640: DBFE0000 4C000019
	v_mov_b32_e32 v213, v60                                    // 000000004648: 7FAA033C
	v_max3_f32 v213, v60, v61, v213                            // 00000000464C: D1D300D5 07567B3C
	v_max3_f32 v213, v62, v63, v213                            // 000000004654: D1D300D5 07567F3E
	v_max3_f32 v213, v64, v65, v213                            // 00000000465C: D1D300D5 07568340
	v_max3_f32 v213, v66, v67, v213                            // 000000004664: D1D300D5 07568742
	v_max3_f32 v213, v68, v69, v213                            // 00000000466C: D1D300D5 07568B44
	v_max3_f32 v213, v70, v71, v213                            // 000000004674: D1D300D5 07568F46
	v_max3_f32 v213, v72, v73, v213                            // 00000000467C: D1D300D5 07569348
	v_max3_f32 v213, v74, v75, v213                            // 000000004684: D1D300D5 0756974A
	v_mov_b32_e32 v35, v213                                    // 00000000468C: 7E4603D5
	v_mov_b32_e32 v36, v213                                    // 000000004690: 7E4803D5
	s_nop 0                                                    // 000000004694: BF800000
	v_mfma_f32_32x32x64_f8f6f4 v[92:107], a[80:87], v[44:51], v[92:107]// 000000004698: D3AE005C 0D725950
	v_permlane32_swap_b32_e32 v35, v36                         // 0000000046A0: 7E46B524
	v_max3_f32 v213, v35, v36, v213                            // 0000000046A4: D1D300D5 07564923
	ds_write_b32 v41, v213                                     // 0000000046AC: D81A0000 0000D529
	s_mov_b32 s56, 0x1d000                                     // 0000000046B4: BEB800FF 0001D000
	s_mul_i32 s57, s7, 0x2400                                  // 0000000046BC: 9239FF07 00002400
	s_add_u32 m0, s56, s57                                     // 0000000046C4: 807C3938
	buffer_load_dwordx4 v217, s[20:23], 0 offen lds            // 0000000046C8: E05D1000 800500D9
	s_add_i32 m0, m0, 0x3c0                                    // 0000000046D0: 817CFF7C 000003C0
	buffer_load_dwordx4 v217, s[20:23], 0 offen offset:64 lds  // 0000000046D8: E05D1040 800500D9
	s_add_i32 m0, m0, 0x3c0                                    // 0000000046E0: 817CFF7C 000003C0
	s_waitcnt lgkmcnt(0)                                       // 0000000046E8: BF8CC07F
	s_barrier                                                  // 0000000046EC: BF8A0000
	v_mfma_f32_32x32x64_f8f6f4 v[108:123], a[88:95], v[44:51], v[108:123]// 0000000046F0: D3AE006C 0DB25958
	ds_read_b32 v35, v40                                       // 0000000046F8: D86C0000 23000028
	ds_read_b32 v36, v40 offset:256                            // 000000004700: D86C0100 24000028
	s_waitcnt lgkmcnt(0)                                       // 000000004708: BF8CC07F
	v_max3_f32 v213, v35, v36, v213                            // 00000000470C: D1D300D5 07564923
	v_mov_b32_e32 v35, 0xff800000                              // 000000004714: 7E4602FF FF800000
	v_cmp_eq_u32_e64 s[36:37], v35, v2                         // 00000000471C: D0CA0024 00020523
	v_max_f32_e32 v216, v213, v2                               // 000000004724: 17B005D5
	v_sub_f32_e32 v21, v2, v216                                // 000000004728: 042BB102
	v_cndmask_b32_e64 v21, v21, 0, s[36:37]                    // 00000000472C: D1000015 00910115
	v_mfma_f32_32x32x64_f8f6f4 v[124:139], a[96:103], v[44:51], v[124:139]// 000000004734: D3AE007C 0DF25960
	buffer_load_dwordx4 v217, s[20:23], 0 offen offset:128 lds // 00000000473C: E05D1080 800500D9
	s_add_i32 m0, m0, 0x3c0                                    // 000000004744: 817CFF7C 000003C0
	v_mov_b32_e32 v2, v216                                     // 00000000474C: 7E0403D8
	v_mul_f32_e32 v212, s5, v216                               // 000000004750: 0BA9B005
	v_mul_f32_e32 v21, s5, v21                                 // 000000004754: 0A2A2A05
	v_exp_f32_e32 v21, v21                                     // 000000004758: 7E2A4115
	v_fma_f32 v60, v60, s5, -v212                              // 00000000475C: D1CB003C 87500B3C
	v_fma_f32 v61, v61, s5, -v212                              // 000000004764: D1CB003D 87500B3D
	v_fma_f32 v62, v62, s5, -v212                              // 00000000476C: D1CB003E 87500B3E
	v_fma_f32 v63, v63, s5, -v212                              // 000000004774: D1CB003F 87500B3F
	v_fma_f32 v64, v64, s5, -v212                              // 00000000477C: D1CB0040 87500B40
	v_fma_f32 v65, v65, s5, -v212                              // 000000004784: D1CB0041 87500B41
	v_fma_f32 v66, v66, s5, -v212                              // 00000000478C: D1CB0042 87500B42
	v_fma_f32 v67, v67, s5, -v212                              // 000000004794: D1CB0043 87500B43
	v_fma_f32 v68, v68, s5, -v212                              // 00000000479C: D1CB0044 87500B44
	v_mfma_f32_32x32x64_f8f6f4 v[140:155], a[104:111], v[44:51], v[140:155]// 0000000047A4: D3AE008C 0E325968
	ds_read_b128 a[80:83], v24 offset:1024                     // 0000000047AC: DBFE0400 50000018
	ds_read_b128 a[84:87], v25 offset:1024                     // 0000000047B4: DBFE0400 54000019
	ds_read_b128 a[88:91], v24 offset:2048                     // 0000000047BC: DBFE0800 58000018
	ds_read_b128 a[92:95], v25 offset:2048                     // 0000000047C4: DBFE0800 5C000019
	ds_read_b128 a[96:99], v24 offset:3072                     // 0000000047CC: DBFE0C00 60000018
	ds_read_b128 a[100:103], v25 offset:3072                   // 0000000047D4: DBFE0C00 64000019
	v_fma_f32 v69, v69, s5, -v212                              // 0000000047DC: D1CB0045 87500B45
	v_fma_f32 v70, v70, s5, -v212                              // 0000000047E4: D1CB0046 87500B46
	v_fma_f32 v71, v71, s5, -v212                              // 0000000047EC: D1CB0047 87500B47
	v_fma_f32 v72, v72, s5, -v212                              // 0000000047F4: D1CB0048 87500B48
	v_fma_f32 v73, v73, s5, -v212                              // 0000000047FC: D1CB0049 87500B49
	v_fma_f32 v74, v74, s5, -v212                              // 000000004804: D1CB004A 87500B4A
	v_fma_f32 v75, v75, s5, -v212                              // 00000000480C: D1CB004B 87500B4B
	v_exp_f32_e32 v60, v60                                     // 000000004814: 7E78413C
	v_exp_f32_e32 v61, v61                                     // 000000004818: 7E7A413D
	v_mfma_f32_32x32x64_f8f6f4 v[156:171], a[112:119], v[44:51], v[156:171]// 00000000481C: D3AE009C 0E725970
	buffer_load_dwordx4 v217, s[20:23], 0 offen offset:192 lds // 000000004824: E05D10C0 800500D9
	s_add_i32 m0, m0, 0x3c0                                    // 00000000482C: 817CFF7C 000003C0
	v_exp_f32_e32 v62, v62                                     // 000000004834: 7E7C413E
	v_exp_f32_e32 v63, v63                                     // 000000004838: 7E7E413F
	v_exp_f32_e32 v64, v64                                     // 00000000483C: 7E804140
	v_exp_f32_e32 v65, v65                                     // 000000004840: 7E824141
	v_exp_f32_e32 v66, v66                                     // 000000004844: 7E844142
	v_exp_f32_e32 v67, v67                                     // 000000004848: 7E864143
	v_exp_f32_e32 v68, v68                                     // 00000000484C: 7E884144
	v_mfma_f32_32x32x64_f8f6f4 v[172:187], a[120:127], v[44:51], v[172:187]// 000000004850: D3AE00AC 0EB25978
	ds_read_b128 a[104:107], v24 offset:4096                   // 000000004858: DBFE1000 68000018
	ds_read_b128 a[108:111], v25 offset:4096                   // 000000004860: DBFE1000 6C000019
	ds_read_b128 a[112:115], v24 offset:5120                   // 000000004868: DBFE1400 70000018
	ds_read_b128 a[116:119], v25 offset:5120                   // 000000004870: DBFE1400 74000019
	ds_read_b128 a[120:123], v24 offset:6144                   // 000000004878: DBFE1800 78000018
	ds_read_b128 a[124:127], v25 offset:6144                   // 000000004880: DBFE1800 7C000019
	v_exp_f32_e32 v69, v69                                     // 000000004888: 7E8A4145
	v_exp_f32_e32 v70, v70                                     // 00000000488C: 7E8C4146
	v_exp_f32_e32 v71, v71                                     // 000000004890: 7E8E4147
	v_exp_f32_e32 v72, v72                                     // 000000004894: 7E904148
	v_exp_f32_e32 v73, v73                                     // 000000004898: 7E924149
	v_mfma_f32_32x32x64_f8f6f4 v[188:203], a[128:135], v[44:51], v[188:203]// 00000000489C: D3AE00BC 0EF25980
	ds_read_b128 a[128:131], v24 offset:7168                   // 0000000048A4: DBFE1C00 80000018
	ds_read_b128 a[132:135], v25 offset:7168                   // 0000000048AC: DBFE1C00 84000019
	ds_read_b128 a[136:139], v24 offset:8192                   // 0000000048B4: DBFE2000 88000018
	ds_read_b128 a[140:143], v25 offset:8192                   // 0000000048BC: DBFE2000 8C000019
	v_exp_f32_e32 v74, v74                                     // 0000000048C4: 7E94414A
	v_exp_f32_e32 v75, v75                                     // 0000000048C8: 7E96414B
	v_mul_f32_e32 v4, v21, v4                                  // 0000000048CC: 0A080915
	v_mov_b32_e32 v35, v60                                     // 0000000048D0: 7E46033C
	v_add_f32_e32 v35, v61, v35                                // 0000000048D4: 0246473D
	v_add_f32_e32 v35, v62, v35                                // 0000000048D8: 0246473E
	v_add_f32_e32 v35, v63, v35                                // 0000000048DC: 0246473F
	v_add_f32_e32 v35, v64, v35                                // 0000000048E0: 02464740
	v_add_f32_e32 v35, v65, v35                                // 0000000048E4: 02464741
	v_add_f32_e32 v35, v66, v35                                // 0000000048E8: 02464742
	v_add_f32_e32 v35, v67, v35                                // 0000000048EC: 02464743
	v_add_f32_e32 v35, v68, v35                                // 0000000048F0: 02464744
	v_add_f32_e32 v35, v69, v35                                // 0000000048F4: 02464745
	v_add_f32_e32 v35, v70, v35                                // 0000000048F8: 02464746
	v_add_f32_e32 v35, v71, v35                                // 0000000048FC: 02464747
	v_add_f32_e32 v35, v72, v35                                // 000000004900: 02464748
	v_add_f32_e32 v35, v73, v35                                // 000000004904: 02464749
	v_add_f32_e32 v35, v74, v35                                // 000000004908: 0246474A
	v_add_f32_e32 v35, v75, v35                                // 00000000490C: 0246474B
	v_add_f32_e32 v4, v35, v4                                  // 000000004910: 02080923
	v_cvt_pk_fp8_f32 v60, v60, v61                             // 000000004914: D2A2003C 00027B3C
	v_cvt_pk_fp8_f32 v60, v62, v63 op_sel:[0,0,1]              // 00000000491C: D2A2403C 00027F3E
	v_cvt_pk_fp8_f32 v61, v64, v65                             // 000000004924: D2A2003D 00028340
	v_cvt_pk_fp8_f32 v61, v66, v67 op_sel:[0,0,1]              // 00000000492C: D2A2403D 00028742
	v_cvt_pk_fp8_f32 v62, v68, v69                             // 000000004934: D2A2003E 00028B44
	v_cvt_pk_fp8_f32 v62, v70, v71 op_sel:[0,0,1]              // 00000000493C: D2A2403E 00028F46
	v_cvt_pk_fp8_f32 v63, v72, v73                             // 000000004944: D2A2003F 00029348
	v_cvt_pk_fp8_f32 v63, v74, v75 op_sel:[0,0,1]              // 00000000494C: D2A2403F 0002974A
	s_waitcnt lgkmcnt(8)                                       // 000000004954: BF8CC87F
	v_mfma_f32_32x32x64_f8f6f4 v[44:59], a[72:79], a[0:7], 0   // 000000004958: D3AE002C 1A020148
	ds_write_b128 v43, v[60:63] offset:1024                    // 000000004960: D9BE0400 00003C2B
	buffer_load_dword v30, v34, s[24:27], 0 offen              // 000000004968: E0501000 80061E22
	buffer_load_dwordx4 v217, s[20:23], 0 offen offset:256 lds // 000000004970: E05D1100 800500D9
	s_add_i32 m0, m0, 0x3c0                                    // 000000004978: 817CFF7C 000003C0
	v_mul_f32_e32 v76, v21, v76                                // 000000004980: 0A989915
	v_mul_f32_e32 v77, v21, v77                                // 000000004984: 0A9A9B15
	v_mul_f32_e32 v78, v21, v78                                // 000000004988: 0A9C9D15
	v_mul_f32_e32 v79, v21, v79                                // 00000000498C: 0A9E9F15
	v_mul_f32_e32 v80, v21, v80                                // 000000004990: 0AA0A115
	v_mul_f32_e32 v81, v21, v81                                // 000000004994: 0AA2A315
	v_mul_f32_e32 v82, v21, v82                                // 000000004998: 0AA4A515
	v_mul_f32_e32 v83, v21, v83                                // 00000000499C: 0AA6A715
	v_mul_f32_e32 v84, v21, v84                                // 0000000049A0: 0AA8A915
	v_mfma_f32_32x32x64_f8f6f4 v[44:59], a[80:87], a[8:15], v[44:59]// 0000000049A4: D3AE002C 1CB21150
	ds_read_b64_tr_b8 a[72:73], v5                             // 0000000049AC: DBC40000 48000005
	ds_read_b64_tr_b8 a[74:75], v6                             // 0000000049B4: DBC40000 4A000006
	ds_read_b64_tr_b8 a[76:77], v5 offset:18432                // 0000000049BC: DBC44800 4C000005
	ds_read_b64_tr_b8 a[78:79], v6 offset:18432                // 0000000049C4: DBC44800 4E000006
	ds_read_b64_tr_b8 a[80:81], v7                             // 0000000049CC: DBC40000 50000007
	ds_read_b64_tr_b8 a[82:83], v8                             // 0000000049D4: DBC40000 52000008
	ds_read_b64_tr_b8 a[84:85], v7 offset:18432                // 0000000049DC: DBC44800 54000007
	ds_read_b64_tr_b8 a[86:87], v8 offset:18432                // 0000000049E4: DBC44800 56000008
	v_mul_f32_e32 v85, v21, v85                                // 0000000049EC: 0AAAAB15
	v_mul_f32_e32 v86, v21, v86                                // 0000000049F0: 0AACAD15
	v_mul_f32_e32 v87, v21, v87                                // 0000000049F4: 0AAEAF15
	v_mul_f32_e32 v88, v21, v88                                // 0000000049F8: 0AB0B115
	v_mul_f32_e32 v89, v21, v89                                // 0000000049FC: 0AB2B315
	v_mul_f32_e32 v90, v21, v90                                // 000000004A00: 0AB4B515
	v_mul_f32_e32 v91, v21, v91                                // 000000004A04: 0AB6B715
	v_mul_f32_e32 v92, v21, v92                                // 000000004A08: 0AB8B915
	v_mul_f32_e32 v93, v21, v93                                // 000000004A0C: 0ABABB15
	v_mul_f32_e32 v94, v21, v94                                // 000000004A10: 0ABCBD15
	v_mul_f32_e32 v95, v21, v95                                // 000000004A14: 0ABEBF15
	v_mul_f32_e32 v96, v21, v96                                // 000000004A18: 0AC0C115
	s_waitcnt lgkmcnt(0)                                       // 000000004A1C: BF8CC07F
	s_barrier                                                  // 000000004A20: BF8A0000
	v_mfma_f32_32x32x64_f8f6f4 v[44:59], a[88:95], a[16:23], v[44:59]// 000000004A24: D3AE002C 1CB22158
	ds_read_b128 v[60:63], v42 offset:1024                     // 000000004A2C: D9FE0400 3C00002A
	ds_read_b128 v[64:67], v42 offset:2048                     // 000000004A34: D9FE0800 4000002A
	buffer_load_dwordx4 v217, s[20:23], 0 offen offset:320 lds // 000000004A3C: E05D1140 800500D9
	s_add_i32 m0, m0, 0x3c0                                    // 000000004A44: 817CFF7C 000003C0
	v_mul_f32_e32 v97, v21, v97                                // 000000004A4C: 0AC2C315
	v_mul_f32_e32 v98, v21, v98                                // 000000004A50: 0AC4C515
	v_mul_f32_e32 v99, v21, v99                                // 000000004A54: 0AC6C715
	v_mul_f32_e32 v100, v21, v100                              // 000000004A58: 0AC8C915
	v_mul_f32_e32 v101, v21, v101                              // 000000004A5C: 0ACACB15
	v_mul_f32_e32 v102, v21, v102                              // 000000004A60: 0ACCCD15
	v_mul_f32_e32 v103, v21, v103                              // 000000004A64: 0ACECF15
	v_mul_f32_e32 v104, v21, v104                              // 000000004A68: 0AD0D115
	v_mul_f32_e32 v105, v21, v105                              // 000000004A6C: 0AD2D315
	v_mul_f32_e32 v106, v21, v106                              // 000000004A70: 0AD4D515
	v_mul_f32_e32 v107, v21, v107                              // 000000004A74: 0AD6D715
	v_mul_f32_e32 v108, v21, v108                              // 000000004A78: 0AD8D915
	v_add_u32_e32 v34, s73, v34                                // 000000004A7C: 68444449
	v_mfma_f32_32x32x64_f8f6f4 v[44:59], a[96:103], a[24:31], v[44:59]// 000000004A80: D3AE002C 1CB23160
	ds_read_b64_tr_b8 a[88:89], v5 offset:1024                 // 000000004A88: DBC40400 58000005
	ds_read_b64_tr_b8 a[90:91], v6 offset:1024                 // 000000004A90: DBC40400 5A000006
	ds_read_b64_tr_b8 a[92:93], v5 offset:19456                // 000000004A98: DBC44C00 5C000005
	ds_read_b64_tr_b8 a[94:95], v6 offset:19456                // 000000004AA0: DBC44C00 5E000006
	ds_read_b64_tr_b8 a[96:97], v7 offset:1024                 // 000000004AA8: DBC40400 60000007
	ds_read_b64_tr_b8 a[98:99], v8 offset:1024                 // 000000004AB0: DBC40400 62000008
	ds_read_b64_tr_b8 a[100:101], v7 offset:19456              // 000000004AB8: DBC44C00 64000007
	ds_read_b64_tr_b8 a[102:103], v8 offset:19456              // 000000004AC0: DBC44C00 66000008
	v_mul_f32_e32 v109, v21, v109                              // 000000004AC8: 0ADADB15
	v_mul_f32_e32 v110, v21, v110                              // 000000004ACC: 0ADCDD15
	v_mul_f32_e32 v111, v21, v111                              // 000000004AD0: 0ADEDF15
	v_mul_f32_e32 v112, v21, v112                              // 000000004AD4: 0AE0E115
	v_mul_f32_e32 v113, v21, v113                              // 000000004AD8: 0AE2E315
	v_mul_f32_e32 v114, v21, v114                              // 000000004ADC: 0AE4E515
	v_mul_f32_e32 v115, v21, v115                              // 000000004AE0: 0AE6E715
	v_mul_f32_e32 v116, v21, v116                              // 000000004AE4: 0AE8E915
	v_mul_f32_e32 v117, v21, v117                              // 000000004AE8: 0AEAEB15
	v_mul_f32_e32 v118, v21, v118                              // 000000004AEC: 0AECED15
	v_mul_f32_e32 v119, v21, v119                              // 000000004AF0: 0AEEEF15
	v_mul_f32_e32 v120, v21, v120                              // 000000004AF4: 0AF0F115
	v_mfma_f32_32x32x64_f8f6f4 v[44:59], a[104:111], a[32:39], v[44:59]// 000000004AF8: D3AE002C 1CB24168
	buffer_load_dwordx4 v217, s[20:23], 0 offen offset:384 lds // 000000004B00: E05D1180 800500D9
	s_add_i32 m0, m0, 0x3c0                                    // 000000004B08: 817CFF7C 000003C0
	v_mul_f32_e32 v121, v21, v121                              // 000000004B10: 0AF2F315
	v_mul_f32_e32 v122, v21, v122                              // 000000004B14: 0AF4F515
	v_mul_f32_e32 v123, v21, v123                              // 000000004B18: 0AF6F715
	v_mul_f32_e32 v124, v21, v124                              // 000000004B1C: 0AF8F915
	v_mul_f32_e32 v125, v21, v125                              // 000000004B20: 0AFAFB15
	v_mul_f32_e32 v126, v21, v126                              // 000000004B24: 0AFCFD15
	v_mul_f32_e32 v127, v21, v127                              // 000000004B28: 0AFEFF15
	v_mul_f32_e32 v128, v21, v128                              // 000000004B2C: 0B010115
	v_mul_f32_e32 v129, v21, v129                              // 000000004B30: 0B030315
	v_mul_f32_e32 v130, v21, v130                              // 000000004B34: 0B050515
	v_mul_f32_e32 v131, v21, v131                              // 000000004B38: 0B070715
	v_mul_f32_e32 v132, v21, v132                              // 000000004B3C: 0B090915
	v_mfma_f32_32x32x64_f8f6f4 v[44:59], a[112:119], a[40:47], v[44:59]// 000000004B40: D3AE002C 1CB25170
	s_waitcnt lgkmcnt(0)                                       // 000000004B48: BF8CC07F
	ds_read_b64_tr_b8 a[104:105], v5 offset:2048               // 000000004B4C: DBC40800 68000005
	ds_read_b64_tr_b8 a[106:107], v6 offset:2048               // 000000004B54: DBC40800 6A000006
	ds_read_b64_tr_b8 a[108:109], v5 offset:20480              // 000000004B5C: DBC45000 6C000005
	ds_read_b64_tr_b8 a[110:111], v6 offset:20480              // 000000004B64: DBC45000 6E000006
	ds_read_b64_tr_b8 a[112:113], v7 offset:2048               // 000000004B6C: DBC40800 70000007
	ds_read_b64_tr_b8 a[114:115], v8 offset:2048               // 000000004B74: DBC40800 72000008
	ds_read_b64_tr_b8 a[116:117], v7 offset:20480              // 000000004B7C: DBC45000 74000007
	ds_read_b64_tr_b8 a[118:119], v8 offset:20480              // 000000004B84: DBC45000 76000008
	v_mul_f32_e32 v133, v21, v133                              // 000000004B8C: 0B0B0B15
	v_mul_f32_e32 v134, v21, v134                              // 000000004B90: 0B0D0D15
	v_mul_f32_e32 v135, v21, v135                              // 000000004B94: 0B0F0F15
	v_mul_f32_e32 v136, v21, v136                              // 000000004B98: 0B111115
	v_mul_f32_e32 v137, v21, v137                              // 000000004B9C: 0B131315
	v_mul_f32_e32 v138, v21, v138                              // 000000004BA0: 0B151515
	v_mul_f32_e32 v139, v21, v139                              // 000000004BA4: 0B171715
	v_mfma_f32_32x32x64_f8f6f4 v[44:59], a[120:127], a[48:55], v[44:59]// 000000004BA8: D3AE002C 1CB26178
	buffer_load_dwordx4 v217, s[20:23], 0 offen offset:448 lds // 000000004BB0: E05D11C0 800500D9
	s_add_i32 m0, m0, 0x3c0                                    // 000000004BB8: 817CFF7C 000003C0
	v_permlane32_swap_b32_e32 v60, v62                         // 000000004BC0: 7E78B53E
	v_permlane32_swap_b32_e32 v61, v63                         // 000000004BC4: 7E7AB53F
	v_swap_b32 v61, v62                                        // 000000004BC8: 7E7AA33E
	v_permlane32_swap_b32_e32 v64, v66                         // 000000004BCC: 7E80B542
	v_permlane32_swap_b32_e32 v65, v67                         // 000000004BD0: 7E82B543
	v_swap_b32 v65, v66                                        // 000000004BD4: 7E82A342
	v_mfma_f32_32x32x64_f8f6f4 v[44:59], a[128:135], a[56:63], v[44:59]// 000000004BD8: D3AE002C 1CB27180
	ds_read_b64_tr_b8 a[120:121], v5 offset:3072               // 000000004BE0: DBC40C00 78000005
	ds_read_b64_tr_b8 a[122:123], v6 offset:3072               // 000000004BE8: DBC40C00 7A000006
	ds_read_b64_tr_b8 a[124:125], v5 offset:21504              // 000000004BF0: DBC45400 7C000005
	ds_read_b64_tr_b8 a[126:127], v6 offset:21504              // 000000004BF8: DBC45400 7E000006
	ds_read_b64_tr_b8 a[128:129], v7 offset:3072               // 000000004C00: DBC40C00 80000007
	ds_read_b64_tr_b8 a[130:131], v8 offset:3072               // 000000004C08: DBC40C00 82000008
	ds_read_b64_tr_b8 a[132:133], v7 offset:21504              // 000000004C10: DBC45400 84000007
	ds_read_b64_tr_b8 a[134:135], v8 offset:21504              // 000000004C18: DBC45400 86000008
	v_mov_b32_e32 v36, v21                                     // 000000004C20: 7E480315
	v_mov_b32_e32 v37, v21                                     // 000000004C24: 7E4A0315
	v_pk_mul_f32 v[140:141], v[36:37], v[140:141]              // 000000004C28: D3B1408C 18031924
	v_pk_mul_f32 v[142:143], v[36:37], v[142:143]              // 000000004C30: D3B1408E 18031D24
	v_pk_mul_f32 v[144:145], v[36:37], v[144:145]              // 000000004C38: D3B14090 18032124
	v_pk_mul_f32 v[146:147], v[36:37], v[146:147]              // 000000004C40: D3B14092 18032524
	v_pk_mul_f32 v[148:149], v[36:37], v[148:149]              // 000000004C48: D3B14094 18032924
	v_pk_mul_f32 v[150:151], v[36:37], v[150:151]              // 000000004C50: D3B14096 18032D24
	v_pk_mul_f32 v[152:153], v[36:37], v[152:153]              // 000000004C58: D3B14098 18033124
	v_pk_mul_f32 v[154:155], v[36:37], v[154:155]              // 000000004C60: D3B1409A 18033524
	v_pk_mul_f32 v[156:157], v[36:37], v[156:157]              // 000000004C68: D3B1409C 18033924
	v_pk_mul_f32 v[158:159], v[36:37], v[158:159]              // 000000004C70: D3B1409E 18033D24
	v_pk_mul_f32 v[160:161], v[36:37], v[160:161]              // 000000004C78: D3B140A0 18034124
	v_pk_mul_f32 v[162:163], v[36:37], v[162:163]              // 000000004C80: D3B140A2 18034524
	v_pk_mul_f32 v[164:165], v[36:37], v[164:165]              // 000000004C88: D3B140A4 18034924
	v_pk_mul_f32 v[166:167], v[36:37], v[166:167]              // 000000004C90: D3B140A6 18034D24
	v_pk_mul_f32 v[168:169], v[36:37], v[168:169]              // 000000004C98: D3B140A8 18035124
	v_pk_mul_f32 v[170:171], v[36:37], v[170:171]              // 000000004CA0: D3B140AA 18035524
	v_pk_mul_f32 v[172:173], v[36:37], v[172:173]              // 000000004CA8: D3B140AC 18035924
	v_pk_mul_f32 v[174:175], v[36:37], v[174:175]              // 000000004CB0: D3B140AE 18035D24
	v_pk_mul_f32 v[176:177], v[36:37], v[176:177]              // 000000004CB8: D3B140B0 18036124
	v_pk_mul_f32 v[178:179], v[36:37], v[178:179]              // 000000004CC0: D3B140B2 18036524
	v_pk_mul_f32 v[180:181], v[36:37], v[180:181]              // 000000004CC8: D3B140B4 18036924
	v_pk_mul_f32 v[182:183], v[36:37], v[182:183]              // 000000004CD0: D3B140B6 18036D24
	v_pk_mul_f32 v[184:185], v[36:37], v[184:185]              // 000000004CD8: D3B140B8 18037124
	v_pk_mul_f32 v[186:187], v[36:37], v[186:187]              // 000000004CE0: D3B140BA 18037524
	v_pk_mul_f32 v[188:189], v[36:37], v[188:189]              // 000000004CE8: D3B140BC 18037924
	v_pk_mul_f32 v[190:191], v[36:37], v[190:191]              // 000000004CF0: D3B140BE 18037D24
	v_pk_mul_f32 v[192:193], v[36:37], v[192:193]              // 000000004CF8: D3B140C0 18038124
	v_pk_mul_f32 v[194:195], v[36:37], v[194:195]              // 000000004D00: D3B140C2 18038524
	v_pk_mul_f32 v[196:197], v[36:37], v[196:197]              // 000000004D08: D3B140C4 18038924
	v_pk_mul_f32 v[198:199], v[36:37], v[198:199]              // 000000004D10: D3B140C6 18038D24
	v_pk_mul_f32 v[200:201], v[36:37], v[200:201]              // 000000004D18: D3B140C8 18039124
	v_pk_mul_f32 v[202:203], v[36:37], v[202:203]              // 000000004D20: D3B140CA 18039524
	v_mfma_f32_32x32x64_f8f6f4 v[44:59], a[136:143], a[64:71], v[44:59]// 000000004D28: D3AE002C 1CB28188
	buffer_load_dwordx4 v217, s[20:23], 0 offen offset:512 lds // 000000004D30: E05D1200 800500D9
	s_add_i32 m0, m0, 0x3c0                                    // 000000004D38: 817CFF7C 000003C0
	s_addk_i32 s70, 0x1                                        // 000000004D40: B7460001
	s_cmp_lt_i32 s70, s71                                      // 000000004D44: BF044746
	s_cbranch_scc0 label_3184                                  // 000000004D48: BF8401CE
	v_mul_u32_u24_e64 v217, v33, s68                           // 000000004D4C: D10800D9 00008921
	v_add_u32_e32 v217, v217, v1                               // 000000004D54: 69B203D9
	s_waitcnt vmcnt(10)                                        // 000000004D58: BF8C0F7A
	s_barrier                                                  // 000000004D5C: BF8A0000
	s_waitcnt lgkmcnt(8)                                       // 000000004D60: BF8CC87F
	v_mfma_f32_32x32x64_f8f6f4 v[76:91], a[72:79], v[60:67], v[76:91]// 000000004D64: D3AE004C 0D327948
	ds_read_b128 a[72:75], v26                                 // 000000004D6C: DBFE0000 4800001A
	ds_read_b128 a[76:79], v27                                 // 000000004D74: DBFE0000 4C00001B
	v_mov_b32_e32 v213, v44                                    // 000000004D7C: 7FAA032C
	v_max3_f32 v213, v44, v45, v213                            // 000000004D80: D1D300D5 07565B2C
	v_max3_f32 v213, v46, v47, v213                            // 000000004D88: D1D300D5 07565F2E
	v_max3_f32 v213, v48, v49, v213                            // 000000004D90: D1D300D5 07566330
	v_max3_f32 v213, v50, v51, v213                            // 000000004D98: D1D300D5 07566732
	v_max3_f32 v213, v52, v53, v213                            // 000000004DA0: D1D300D5 07566B34
	v_max3_f32 v213, v54, v55, v213                            // 000000004DA8: D1D300D5 07566F36
	v_max3_f32 v213, v56, v57, v213                            // 000000004DB0: D1D300D5 07567338
	v_max3_f32 v213, v58, v59, v213                            // 000000004DB8: D1D300D5 0756773A
	v_mov_b32_e32 v35, v213                                    // 000000004DC0: 7E4603D5
	v_mov_b32_e32 v36, v213                                    // 000000004DC4: 7E4803D5
	s_nop 0                                                    // 000000004DC8: BF800000
	v_mfma_f32_32x32x64_f8f6f4 v[92:107], a[80:87], v[60:67], v[92:107]// 000000004DCC: D3AE005C 0D727950
	v_permlane32_swap_b32_e32 v35, v36                         // 000000004DD4: 7E46B524
	v_max3_f32 v213, v35, v36, v213                            // 000000004DD8: D1D300D5 07564923
	ds_write_b32 v41, v213                                     // 000000004DE0: D81A0000 0000D529
	s_mov_b32 s56, 0x2000                                      // 000000004DE8: BEB800FF 00002000
	s_mul_i32 s57, s7, 0x2400                                  // 000000004DF0: 9239FF07 00002400
	s_add_u32 m0, s56, s57                                     // 000000004DF8: 807C3938
	buffer_load_dwordx4 v217, s[20:23], 0 offen lds            // 000000004DFC: E05D1000 800500D9
	s_add_i32 m0, m0, 0x3c0                                    // 000000004E04: 817CFF7C 000003C0
	buffer_load_dwordx4 v217, s[20:23], 0 offen offset:64 lds  // 000000004E0C: E05D1040 800500D9
	s_add_i32 m0, m0, 0x3c0                                    // 000000004E14: 817CFF7C 000003C0
	s_waitcnt lgkmcnt(0)                                       // 000000004E1C: BF8CC07F
	s_barrier                                                  // 000000004E20: BF8A0000
	v_mfma_f32_32x32x64_f8f6f4 v[108:123], a[88:95], v[60:67], v[108:123]// 000000004E24: D3AE006C 0DB27958
	ds_read_b32 v35, v40                                       // 000000004E2C: D86C0000 23000028
	ds_read_b32 v36, v40 offset:256                            // 000000004E34: D86C0100 24000028
	s_waitcnt lgkmcnt(0)                                       // 000000004E3C: BF8CC07F
	v_max3_f32 v213, v35, v36, v213                            // 000000004E40: D1D300D5 07564923
	v_mov_b32_e32 v35, 0xff800000                              // 000000004E48: 7E4602FF FF800000
	v_cmp_eq_u32_e64 s[36:37], v35, v2                         // 000000004E50: D0CA0024 00020523
	v_max_f32_e32 v216, v213, v2                               // 000000004E58: 17B005D5
	v_sub_f32_e32 v21, v2, v216                                // 000000004E5C: 042BB102
	v_cndmask_b32_e64 v21, v21, 0, s[36:37]                    // 000000004E60: D1000015 00910115
	v_mfma_f32_32x32x64_f8f6f4 v[124:139], a[96:103], v[60:67], v[124:139]// 000000004E68: D3AE007C 0DF27960
	buffer_load_dwordx4 v217, s[20:23], 0 offen offset:128 lds // 000000004E70: E05D1080 800500D9
	s_add_i32 m0, m0, 0x3c0                                    // 000000004E78: 817CFF7C 000003C0
	v_mov_b32_e32 v2, v216                                     // 000000004E80: 7E0403D8
	v_mul_f32_e32 v212, s5, v216                               // 000000004E84: 0BA9B005
	v_mul_f32_e32 v21, s5, v21                                 // 000000004E88: 0A2A2A05
	v_exp_f32_e32 v21, v21                                     // 000000004E8C: 7E2A4115
	v_fma_f32 v44, v44, s5, -v212                              // 000000004E90: D1CB002C 87500B2C
	v_fma_f32 v45, v45, s5, -v212                              // 000000004E98: D1CB002D 87500B2D
	v_fma_f32 v46, v46, s5, -v212                              // 000000004EA0: D1CB002E 87500B2E
	v_fma_f32 v47, v47, s5, -v212                              // 000000004EA8: D1CB002F 87500B2F
	v_fma_f32 v48, v48, s5, -v212                              // 000000004EB0: D1CB0030 87500B30
	v_fma_f32 v49, v49, s5, -v212                              // 000000004EB8: D1CB0031 87500B31
	v_fma_f32 v50, v50, s5, -v212                              // 000000004EC0: D1CB0032 87500B32
	v_fma_f32 v51, v51, s5, -v212                              // 000000004EC8: D1CB0033 87500B33
	v_fma_f32 v52, v52, s5, -v212                              // 000000004ED0: D1CB0034 87500B34
	v_mfma_f32_32x32x64_f8f6f4 v[140:155], a[104:111], v[60:67], v[140:155]// 000000004ED8: D3AE008C 0E327968
	ds_read_b128 a[80:83], v26 offset:1024                     // 000000004EE0: DBFE0400 5000001A
	ds_read_b128 a[84:87], v27 offset:1024                     // 000000004EE8: DBFE0400 5400001B
	ds_read_b128 a[88:91], v26 offset:2048                     // 000000004EF0: DBFE0800 5800001A
	ds_read_b128 a[92:95], v27 offset:2048                     // 000000004EF8: DBFE0800 5C00001B
	ds_read_b128 a[96:99], v26 offset:3072                     // 000000004F00: DBFE0C00 6000001A
	ds_read_b128 a[100:103], v27 offset:3072                   // 000000004F08: DBFE0C00 6400001B
	v_fma_f32 v53, v53, s5, -v212                              // 000000004F10: D1CB0035 87500B35
	v_fma_f32 v54, v54, s5, -v212                              // 000000004F18: D1CB0036 87500B36
	v_fma_f32 v55, v55, s5, -v212                              // 000000004F20: D1CB0037 87500B37
	v_fma_f32 v56, v56, s5, -v212                              // 000000004F28: D1CB0038 87500B38
	v_fma_f32 v57, v57, s5, -v212                              // 000000004F30: D1CB0039 87500B39
	v_fma_f32 v58, v58, s5, -v212                              // 000000004F38: D1CB003A 87500B3A
	v_fma_f32 v59, v59, s5, -v212                              // 000000004F40: D1CB003B 87500B3B
	v_exp_f32_e32 v44, v44                                     // 000000004F48: 7E58412C
	v_exp_f32_e32 v45, v45                                     // 000000004F4C: 7E5A412D
	v_mfma_f32_32x32x64_f8f6f4 v[156:171], a[112:119], v[60:67], v[156:171]// 000000004F50: D3AE009C 0E727970
	buffer_load_dwordx4 v217, s[20:23], 0 offen offset:192 lds // 000000004F58: E05D10C0 800500D9
	s_add_i32 m0, m0, 0x3c0                                    // 000000004F60: 817CFF7C 000003C0
	v_exp_f32_e32 v46, v46                                     // 000000004F68: 7E5C412E
	v_exp_f32_e32 v47, v47                                     // 000000004F6C: 7E5E412F
	v_exp_f32_e32 v48, v48                                     // 000000004F70: 7E604130
	v_exp_f32_e32 v49, v49                                     // 000000004F74: 7E624131
	v_exp_f32_e32 v50, v50                                     // 000000004F78: 7E644132
	v_exp_f32_e32 v51, v51                                     // 000000004F7C: 7E664133
	v_exp_f32_e32 v52, v52                                     // 000000004F80: 7E684134
	v_mfma_f32_32x32x64_f8f6f4 v[172:187], a[120:127], v[60:67], v[172:187]// 000000004F84: D3AE00AC 0EB27978
	ds_read_b128 a[104:107], v26 offset:4096                   // 000000004F8C: DBFE1000 6800001A
	ds_read_b128 a[108:111], v27 offset:4096                   // 000000004F94: DBFE1000 6C00001B
	ds_read_b128 a[112:115], v26 offset:5120                   // 000000004F9C: DBFE1400 7000001A
	ds_read_b128 a[116:119], v27 offset:5120                   // 000000004FA4: DBFE1400 7400001B
	ds_read_b128 a[120:123], v26 offset:6144                   // 000000004FAC: DBFE1800 7800001A
	ds_read_b128 a[124:127], v27 offset:6144                   // 000000004FB4: DBFE1800 7C00001B
	v_exp_f32_e32 v53, v53                                     // 000000004FBC: 7E6A4135
	v_exp_f32_e32 v54, v54                                     // 000000004FC0: 7E6C4136
	v_exp_f32_e32 v55, v55                                     // 000000004FC4: 7E6E4137
	v_exp_f32_e32 v56, v56                                     // 000000004FC8: 7E704138
	v_exp_f32_e32 v57, v57                                     // 000000004FCC: 7E724139
	v_mfma_f32_32x32x64_f8f6f4 v[188:203], a[128:135], v[60:67], v[188:203]// 000000004FD0: D3AE00BC 0EF27980
	ds_read_b128 a[128:131], v26 offset:7168                   // 000000004FD8: DBFE1C00 8000001A
	ds_read_b128 a[132:135], v27 offset:7168                   // 000000004FE0: DBFE1C00 8400001B
	ds_read_b128 a[136:139], v26 offset:8192                   // 000000004FE8: DBFE2000 8800001A
	ds_read_b128 a[140:143], v27 offset:8192                   // 000000004FF0: DBFE2000 8C00001B
	v_exp_f32_e32 v58, v58                                     // 000000004FF8: 7E74413A
	v_exp_f32_e32 v59, v59                                     // 000000004FFC: 7E76413B
	v_mul_f32_e32 v4, v21, v4                                  // 000000005000: 0A080915
	v_mov_b32_e32 v35, v44                                     // 000000005004: 7E46032C
	v_add_f32_e32 v35, v45, v35                                // 000000005008: 0246472D
	v_add_f32_e32 v35, v46, v35                                // 00000000500C: 0246472E
	v_add_f32_e32 v35, v47, v35                                // 000000005010: 0246472F
	v_add_f32_e32 v35, v48, v35                                // 000000005014: 02464730
	v_add_f32_e32 v35, v49, v35                                // 000000005018: 02464731
	v_add_f32_e32 v35, v50, v35                                // 00000000501C: 02464732
	v_add_f32_e32 v35, v51, v35                                // 000000005020: 02464733
	v_add_f32_e32 v35, v52, v35                                // 000000005024: 02464734
	;; [unrolled: 1-line block ×3, first 2 shown]
	v_add_f32_e32 v35, v54, v35                                // 00000000502C: 02464736
	v_add_f32_e32 v35, v55, v35                                // 000000005030: 02464737
	v_add_f32_e32 v35, v56, v35                                // 000000005034: 02464738
	;; [unrolled: 1-line block ×3, first 2 shown]
	v_add_f32_e32 v35, v58, v35                                // 00000000503C: 0246473A
	v_add_f32_e32 v35, v59, v35                                // 000000005040: 0246473B
	v_add_f32_e32 v4, v35, v4                                  // 000000005044: 02080923
	v_cvt_pk_fp8_f32 v44, v44, v45                             // 000000005048: D2A2002C 00025B2C
	v_cvt_pk_fp8_f32 v44, v46, v47 op_sel:[0,0,1]              // 000000005050: D2A2402C 00025F2E
	v_cvt_pk_fp8_f32 v45, v48, v49                             // 000000005058: D2A2002D 00026330
	v_cvt_pk_fp8_f32 v45, v50, v51 op_sel:[0,0,1]              // 000000005060: D2A2402D 00026732
	v_cvt_pk_fp8_f32 v46, v52, v53                             // 000000005068: D2A2002E 00026B34
	v_cvt_pk_fp8_f32 v46, v54, v55 op_sel:[0,0,1]              // 000000005070: D2A2402E 00026F36
	v_cvt_pk_fp8_f32 v47, v56, v57                             // 000000005078: D2A2002F 00027338
	v_cvt_pk_fp8_f32 v47, v58, v59 op_sel:[0,0,1]              // 000000005080: D2A2402F 0002773A
	s_waitcnt lgkmcnt(8)                                       // 000000005088: BF8CC87F
	v_mfma_f32_32x32x64_f8f6f4 v[60:75], a[72:79], a[0:7], 0   // 00000000508C: D3AE003C 1A020148
	ds_write_b128 v43, v[44:47] offset:1024                    // 000000005094: D9BE0400 00002C2B
	buffer_load_dword v31, v34, s[24:27], 0 offen              // 00000000509C: E0501000 80061F22
	buffer_load_dwordx4 v217, s[20:23], 0 offen offset:256 lds // 0000000050A4: E05D1100 800500D9
	s_add_i32 m0, m0, 0x3c0                                    // 0000000050AC: 817CFF7C 000003C0
	v_mul_f32_e32 v76, v21, v76                                // 0000000050B4: 0A989915
	v_mul_f32_e32 v77, v21, v77                                // 0000000050B8: 0A9A9B15
	v_mul_f32_e32 v78, v21, v78                                // 0000000050BC: 0A9C9D15
	v_mul_f32_e32 v79, v21, v79                                // 0000000050C0: 0A9E9F15
	v_mul_f32_e32 v80, v21, v80                                // 0000000050C4: 0AA0A115
	v_mul_f32_e32 v81, v21, v81                                // 0000000050C8: 0AA2A315
	v_mul_f32_e32 v82, v21, v82                                // 0000000050CC: 0AA4A515
	v_mul_f32_e32 v83, v21, v83                                // 0000000050D0: 0AA6A715
	v_mul_f32_e32 v84, v21, v84                                // 0000000050D4: 0AA8A915
	v_mfma_f32_32x32x64_f8f6f4 v[60:75], a[80:87], a[8:15], v[60:75]// 0000000050D8: D3AE003C 1CF21150
	ds_read_b64_tr_b8 a[72:73], v9                             // 0000000050E0: DBC40000 48000009
	ds_read_b64_tr_b8 a[74:75], v10                            // 0000000050E8: DBC40000 4A00000A
	ds_read_b64_tr_b8 a[76:77], v9 offset:18432                // 0000000050F0: DBC44800 4C000009
	ds_read_b64_tr_b8 a[78:79], v10 offset:18432               // 0000000050F8: DBC44800 4E00000A
	ds_read_b64_tr_b8 a[80:81], v11                            // 000000005100: DBC40000 5000000B
	ds_read_b64_tr_b8 a[82:83], v12                            // 000000005108: DBC40000 5200000C
	ds_read_b64_tr_b8 a[84:85], v11 offset:18432               // 000000005110: DBC44800 5400000B
	ds_read_b64_tr_b8 a[86:87], v12 offset:18432               // 000000005118: DBC44800 5600000C
	v_mul_f32_e32 v85, v21, v85                                // 000000005120: 0AAAAB15
	v_mul_f32_e32 v86, v21, v86                                // 000000005124: 0AACAD15
	v_mul_f32_e32 v87, v21, v87                                // 000000005128: 0AAEAF15
	v_mul_f32_e32 v88, v21, v88                                // 00000000512C: 0AB0B115
	v_mul_f32_e32 v89, v21, v89                                // 000000005130: 0AB2B315
	v_mul_f32_e32 v90, v21, v90                                // 000000005134: 0AB4B515
	v_mul_f32_e32 v91, v21, v91                                // 000000005138: 0AB6B715
	v_mul_f32_e32 v92, v21, v92                                // 00000000513C: 0AB8B915
	v_mul_f32_e32 v93, v21, v93                                // 000000005140: 0ABABB15
	v_mul_f32_e32 v94, v21, v94                                // 000000005144: 0ABCBD15
	v_mul_f32_e32 v95, v21, v95                                // 000000005148: 0ABEBF15
	v_mul_f32_e32 v96, v21, v96                                // 00000000514C: 0AC0C115
	s_waitcnt lgkmcnt(0)                                       // 000000005150: BF8CC07F
	s_barrier                                                  // 000000005154: BF8A0000
	v_mfma_f32_32x32x64_f8f6f4 v[60:75], a[88:95], a[16:23], v[60:75]// 000000005158: D3AE003C 1CF22158
	ds_read_b128 v[44:47], v42 offset:1024                     // 000000005160: D9FE0400 2C00002A
	ds_read_b128 v[48:51], v42 offset:2048                     // 000000005168: D9FE0800 3000002A
	buffer_load_dwordx4 v217, s[20:23], 0 offen offset:320 lds // 000000005170: E05D1140 800500D9
	s_add_i32 m0, m0, 0x3c0                                    // 000000005178: 817CFF7C 000003C0
	v_mul_f32_e32 v97, v21, v97                                // 000000005180: 0AC2C315
	v_mul_f32_e32 v98, v21, v98                                // 000000005184: 0AC4C515
	v_mul_f32_e32 v99, v21, v99                                // 000000005188: 0AC6C715
	v_mul_f32_e32 v100, v21, v100                              // 00000000518C: 0AC8C915
	v_mul_f32_e32 v101, v21, v101                              // 000000005190: 0ACACB15
	v_mul_f32_e32 v102, v21, v102                              // 000000005194: 0ACCCD15
	v_mul_f32_e32 v103, v21, v103                              // 000000005198: 0ACECF15
	v_mul_f32_e32 v104, v21, v104                              // 00000000519C: 0AD0D115
	v_mul_f32_e32 v105, v21, v105                              // 0000000051A0: 0AD2D315
	v_mul_f32_e32 v106, v21, v106                              // 0000000051A4: 0AD4D515
	v_mul_f32_e32 v107, v21, v107                              // 0000000051A8: 0AD6D715
	v_mul_f32_e32 v108, v21, v108                              // 0000000051AC: 0AD8D915
	v_add_u32_e32 v34, s73, v34                                // 0000000051B0: 68444449
	v_mfma_f32_32x32x64_f8f6f4 v[60:75], a[96:103], a[24:31], v[60:75]// 0000000051B4: D3AE003C 1CF23160
	ds_read_b64_tr_b8 a[88:89], v9 offset:1024                 // 0000000051BC: DBC40400 58000009
	ds_read_b64_tr_b8 a[90:91], v10 offset:1024                // 0000000051C4: DBC40400 5A00000A
	ds_read_b64_tr_b8 a[92:93], v9 offset:19456                // 0000000051CC: DBC44C00 5C000009
	ds_read_b64_tr_b8 a[94:95], v10 offset:19456               // 0000000051D4: DBC44C00 5E00000A
	ds_read_b64_tr_b8 a[96:97], v11 offset:1024                // 0000000051DC: DBC40400 6000000B
	ds_read_b64_tr_b8 a[98:99], v12 offset:1024                // 0000000051E4: DBC40400 6200000C
	ds_read_b64_tr_b8 a[100:101], v11 offset:19456             // 0000000051EC: DBC44C00 6400000B
	ds_read_b64_tr_b8 a[102:103], v12 offset:19456             // 0000000051F4: DBC44C00 6600000C
	v_mul_f32_e32 v109, v21, v109                              // 0000000051FC: 0ADADB15
	v_mul_f32_e32 v110, v21, v110                              // 000000005200: 0ADCDD15
	v_mul_f32_e32 v111, v21, v111                              // 000000005204: 0ADEDF15
	v_mul_f32_e32 v112, v21, v112                              // 000000005208: 0AE0E115
	v_mul_f32_e32 v113, v21, v113                              // 00000000520C: 0AE2E315
	v_mul_f32_e32 v114, v21, v114                              // 000000005210: 0AE4E515
	v_mul_f32_e32 v115, v21, v115                              // 000000005214: 0AE6E715
	v_mul_f32_e32 v116, v21, v116                              // 000000005218: 0AE8E915
	v_mul_f32_e32 v117, v21, v117                              // 00000000521C: 0AEAEB15
	v_mul_f32_e32 v118, v21, v118                              // 000000005220: 0AECED15
	v_mul_f32_e32 v119, v21, v119                              // 000000005224: 0AEEEF15
	v_mul_f32_e32 v120, v21, v120                              // 000000005228: 0AF0F115
	v_mfma_f32_32x32x64_f8f6f4 v[60:75], a[104:111], a[32:39], v[60:75]// 00000000522C: D3AE003C 1CF24168
	buffer_load_dwordx4 v217, s[20:23], 0 offen offset:384 lds // 000000005234: E05D1180 800500D9
	s_add_i32 m0, m0, 0x3c0                                    // 00000000523C: 817CFF7C 000003C0
	v_mul_f32_e32 v121, v21, v121                              // 000000005244: 0AF2F315
	v_mul_f32_e32 v122, v21, v122                              // 000000005248: 0AF4F515
	v_mul_f32_e32 v123, v21, v123                              // 00000000524C: 0AF6F715
	v_mul_f32_e32 v124, v21, v124                              // 000000005250: 0AF8F915
	v_mul_f32_e32 v125, v21, v125                              // 000000005254: 0AFAFB15
	v_mul_f32_e32 v126, v21, v126                              // 000000005258: 0AFCFD15
	v_mul_f32_e32 v127, v21, v127                              // 00000000525C: 0AFEFF15
	v_mul_f32_e32 v128, v21, v128                              // 000000005260: 0B010115
	v_mul_f32_e32 v129, v21, v129                              // 000000005264: 0B030315
	v_mul_f32_e32 v130, v21, v130                              // 000000005268: 0B050515
	v_mul_f32_e32 v131, v21, v131                              // 00000000526C: 0B070715
	v_mul_f32_e32 v132, v21, v132                              // 000000005270: 0B090915
	v_mfma_f32_32x32x64_f8f6f4 v[60:75], a[112:119], a[40:47], v[60:75]// 000000005274: D3AE003C 1CF25170
	s_waitcnt lgkmcnt(0)                                       // 00000000527C: BF8CC07F
	ds_read_b64_tr_b8 a[104:105], v9 offset:2048               // 000000005280: DBC40800 68000009
	ds_read_b64_tr_b8 a[106:107], v10 offset:2048              // 000000005288: DBC40800 6A00000A
	ds_read_b64_tr_b8 a[108:109], v9 offset:20480              // 000000005290: DBC45000 6C000009
	ds_read_b64_tr_b8 a[110:111], v10 offset:20480             // 000000005298: DBC45000 6E00000A
	ds_read_b64_tr_b8 a[112:113], v11 offset:2048              // 0000000052A0: DBC40800 7000000B
	ds_read_b64_tr_b8 a[114:115], v12 offset:2048              // 0000000052A8: DBC40800 7200000C
	ds_read_b64_tr_b8 a[116:117], v11 offset:20480             // 0000000052B0: DBC45000 7400000B
	ds_read_b64_tr_b8 a[118:119], v12 offset:20480             // 0000000052B8: DBC45000 7600000C
	v_mul_f32_e32 v133, v21, v133                              // 0000000052C0: 0B0B0B15
	v_mul_f32_e32 v134, v21, v134                              // 0000000052C4: 0B0D0D15
	v_mul_f32_e32 v135, v21, v135                              // 0000000052C8: 0B0F0F15
	v_mul_f32_e32 v136, v21, v136                              // 0000000052CC: 0B111115
	v_mul_f32_e32 v137, v21, v137                              // 0000000052D0: 0B131315
	v_mul_f32_e32 v138, v21, v138                              // 0000000052D4: 0B151515
	v_mul_f32_e32 v139, v21, v139                              // 0000000052D8: 0B171715
	v_mfma_f32_32x32x64_f8f6f4 v[60:75], a[120:127], a[48:55], v[60:75]// 0000000052DC: D3AE003C 1CF26178
	buffer_load_dwordx4 v217, s[20:23], 0 offen offset:448 lds // 0000000052E4: E05D11C0 800500D9
	s_add_i32 m0, m0, 0x3c0                                    // 0000000052EC: 817CFF7C 000003C0
	v_permlane32_swap_b32_e32 v44, v46                         // 0000000052F4: 7E58B52E
	v_permlane32_swap_b32_e32 v45, v47                         // 0000000052F8: 7E5AB52F
	v_swap_b32 v45, v46                                        // 0000000052FC: 7E5AA32E
	v_permlane32_swap_b32_e32 v48, v50                         // 000000005300: 7E60B532
	v_permlane32_swap_b32_e32 v49, v51                         // 000000005304: 7E62B533
	v_swap_b32 v49, v50                                        // 000000005308: 7E62A332
	v_mfma_f32_32x32x64_f8f6f4 v[60:75], a[128:135], a[56:63], v[60:75]// 00000000530C: D3AE003C 1CF27180
	ds_read_b64_tr_b8 a[120:121], v9 offset:3072               // 000000005314: DBC40C00 78000009
	ds_read_b64_tr_b8 a[122:123], v10 offset:3072              // 00000000531C: DBC40C00 7A00000A
	ds_read_b64_tr_b8 a[124:125], v9 offset:21504              // 000000005324: DBC45400 7C000009
	ds_read_b64_tr_b8 a[126:127], v10 offset:21504             // 00000000532C: DBC45400 7E00000A
	ds_read_b64_tr_b8 a[128:129], v11 offset:3072              // 000000005334: DBC40C00 8000000B
	ds_read_b64_tr_b8 a[130:131], v12 offset:3072              // 00000000533C: DBC40C00 8200000C
	ds_read_b64_tr_b8 a[132:133], v11 offset:21504             // 000000005344: DBC45400 8400000B
	ds_read_b64_tr_b8 a[134:135], v12 offset:21504             // 00000000534C: DBC45400 8600000C
	v_mov_b32_e32 v36, v21                                     // 000000005354: 7E480315
	v_mov_b32_e32 v37, v21                                     // 000000005358: 7E4A0315
	v_pk_mul_f32 v[140:141], v[36:37], v[140:141]              // 00000000535C: D3B1408C 18031924
	v_pk_mul_f32 v[142:143], v[36:37], v[142:143]              // 000000005364: D3B1408E 18031D24
	v_pk_mul_f32 v[144:145], v[36:37], v[144:145]              // 00000000536C: D3B14090 18032124
	v_pk_mul_f32 v[146:147], v[36:37], v[146:147]              // 000000005374: D3B14092 18032524
	v_pk_mul_f32 v[148:149], v[36:37], v[148:149]              // 00000000537C: D3B14094 18032924
	v_pk_mul_f32 v[150:151], v[36:37], v[150:151]              // 000000005384: D3B14096 18032D24
	v_pk_mul_f32 v[152:153], v[36:37], v[152:153]              // 00000000538C: D3B14098 18033124
	v_pk_mul_f32 v[154:155], v[36:37], v[154:155]              // 000000005394: D3B1409A 18033524
	v_pk_mul_f32 v[156:157], v[36:37], v[156:157]              // 00000000539C: D3B1409C 18033924
	v_pk_mul_f32 v[158:159], v[36:37], v[158:159]              // 0000000053A4: D3B1409E 18033D24
	v_pk_mul_f32 v[160:161], v[36:37], v[160:161]              // 0000000053AC: D3B140A0 18034124
	v_pk_mul_f32 v[162:163], v[36:37], v[162:163]              // 0000000053B4: D3B140A2 18034524
	v_pk_mul_f32 v[164:165], v[36:37], v[164:165]              // 0000000053BC: D3B140A4 18034924
	v_pk_mul_f32 v[166:167], v[36:37], v[166:167]              // 0000000053C4: D3B140A6 18034D24
	v_pk_mul_f32 v[168:169], v[36:37], v[168:169]              // 0000000053CC: D3B140A8 18035124
	v_pk_mul_f32 v[170:171], v[36:37], v[170:171]              // 0000000053D4: D3B140AA 18035524
	v_pk_mul_f32 v[172:173], v[36:37], v[172:173]              // 0000000053DC: D3B140AC 18035924
	v_pk_mul_f32 v[174:175], v[36:37], v[174:175]              // 0000000053E4: D3B140AE 18035D24
	v_pk_mul_f32 v[176:177], v[36:37], v[176:177]              // 0000000053EC: D3B140B0 18036124
	v_pk_mul_f32 v[178:179], v[36:37], v[178:179]              // 0000000053F4: D3B140B2 18036524
	v_pk_mul_f32 v[180:181], v[36:37], v[180:181]              // 0000000053FC: D3B140B4 18036924
	v_pk_mul_f32 v[182:183], v[36:37], v[182:183]              // 000000005404: D3B140B6 18036D24
	v_pk_mul_f32 v[184:185], v[36:37], v[184:185]              // 00000000540C: D3B140B8 18037124
	v_pk_mul_f32 v[186:187], v[36:37], v[186:187]              // 000000005414: D3B140BA 18037524
	v_pk_mul_f32 v[188:189], v[36:37], v[188:189]              // 00000000541C: D3B140BC 18037924
	v_pk_mul_f32 v[190:191], v[36:37], v[190:191]              // 000000005424: D3B140BE 18037D24
	v_pk_mul_f32 v[192:193], v[36:37], v[192:193]              // 00000000542C: D3B140C0 18038124
	v_pk_mul_f32 v[194:195], v[36:37], v[194:195]              // 000000005434: D3B140C2 18038524
	v_pk_mul_f32 v[196:197], v[36:37], v[196:197]              // 00000000543C: D3B140C4 18038924
	v_pk_mul_f32 v[198:199], v[36:37], v[198:199]              // 000000005444: D3B140C6 18038D24
	v_pk_mul_f32 v[200:201], v[36:37], v[200:201]              // 00000000544C: D3B140C8 18039124
	v_pk_mul_f32 v[202:203], v[36:37], v[202:203]              // 000000005454: D3B140CA 18039524
	v_mfma_f32_32x32x64_f8f6f4 v[60:75], a[136:143], a[64:71], v[60:75]// 00000000545C: D3AE003C 1CF28188
	buffer_load_dwordx4 v217, s[20:23], 0 offen offset:512 lds // 000000005464: E05D1200 800500D9
	s_add_i32 m0, m0, 0x3c0                                    // 00000000546C: 817CFF7C 000003C0
	s_addk_i32 s70, 0x1                                        // 000000005474: B7460001
	s_cmp_lt_i32 s70, s71                                      // 000000005478: BF044746
	s_cbranch_scc0 label_3184                                  // 00000000547C: BF840001
	s_branch label_14B0                                        // 000000005480: BF82F8CB

0000000000005484 <label_3184>:
	s_nop 0                                                    // 000000005484: BF800000
	s_nop 0                                                    // 000000005488: BF800000
	s_branch label_503C                                        // 00000000548C: BF8207AB

0000000000005490 <label_3190>:
	v_mul_u32_u24_e64 v217, v30, s68                           // 000000005490: D10800D9 0000891E
	v_add_u32_e32 v217, v217, v1                               // 000000005498: 69B203D9
	s_waitcnt vmcnt(10)                                        // 00000000549C: BF8C0F7A
	s_barrier                                                  // 0000000054A0: BF8A0000
	s_waitcnt lgkmcnt(8)                                       // 0000000054A4: BF8CC87F
	v_mfma_f32_32x32x64_f8f6f4 v[76:91], a[72:79], v[44:51], v[76:91]// 0000000054A8: D3AE004C 0D325948
	v_mov_b32_e32 v213, v60                                    // 0000000054B0: 7FAA033C
	v_max3_f32 v213, v60, v61, v213                            // 0000000054B4: D1D300D5 07567B3C
	v_max3_f32 v213, v62, v63, v213                            // 0000000054BC: D1D300D5 07567F3E
	v_max3_f32 v213, v64, v65, v213                            // 0000000054C4: D1D300D5 07568340
	v_max3_f32 v213, v66, v67, v213                            // 0000000054CC: D1D300D5 07568742
	v_max3_f32 v213, v68, v69, v213                            // 0000000054D4: D1D300D5 07568B44
	v_max3_f32 v213, v70, v71, v213                            // 0000000054DC: D1D300D5 07568F46
	v_max3_f32 v213, v72, v73, v213                            // 0000000054E4: D1D300D5 07569348
	v_max3_f32 v213, v74, v75, v213                            // 0000000054EC: D1D300D5 0756974A
	v_mov_b32_e32 v35, v213                                    // 0000000054F4: 7E4603D5
	v_mov_b32_e32 v36, v213                                    // 0000000054F8: 7E4803D5
	s_nop 0                                                    // 0000000054FC: BF800000
	ds_read_b128 a[72:75], v28                                 // 000000005500: DBFE0000 4800001C
	ds_read_b128 a[76:79], v29                                 // 000000005508: DBFE0000 4C00001D
	v_mfma_f32_32x32x64_f8f6f4 v[92:107], a[80:87], v[44:51], v[92:107]// 000000005510: D3AE005C 0D725950
	v_permlane32_swap_b32_e32 v35, v36                         // 000000005518: 7E46B524
	v_max3_f32 v213, v35, v36, v213                            // 00000000551C: D1D300D5 07564923
	ds_write_b32 v41, v213                                     // 000000005524: D81A0000 0000D529
	s_mov_b32 s56, 0xb000                                      // 00000000552C: BEB800FF 0000B000
	s_mul_i32 s57, s7, 0x2400                                  // 000000005534: 9239FF07 00002400
	s_add_u32 m0, s56, s57                                     // 00000000553C: 807C3938
	buffer_load_dwordx4 v217, s[20:23], 0 offen lds            // 000000005540: E05D1000 800500D9
	s_add_i32 m0, m0, 0x3c0                                    // 000000005548: 817CFF7C 000003C0
	buffer_load_dwordx4 v217, s[20:23], 0 offen offset:64 lds  // 000000005550: E05D1040 800500D9
	s_add_i32 m0, m0, 0x3c0                                    // 000000005558: 817CFF7C 000003C0
	s_waitcnt lgkmcnt(0)                                       // 000000005560: BF8CC07F
	s_barrier                                                  // 000000005564: BF8A0000
	v_mfma_f32_32x32x64_f8f6f4 v[108:123], a[88:95], v[44:51], v[108:123]// 000000005568: D3AE006C 0DB25958
	ds_read_b32 v35, v40                                       // 000000005570: D86C0000 23000028
	ds_read_b32 v36, v40 offset:256                            // 000000005578: D86C0100 24000028
	s_waitcnt lgkmcnt(0)                                       // 000000005580: BF8CC07F
	v_max3_f32 v213, v35, v36, v213                            // 000000005584: D1D300D5 07564923
	v_mov_b32_e32 v35, 0xff800000                              // 00000000558C: 7E4602FF FF800000
	v_cmp_eq_u32_e64 s[36:37], v35, v2                         // 000000005594: D0CA0024 00020523
	v_max_f32_e32 v216, v213, v2                               // 00000000559C: 17B005D5
	v_sub_f32_e32 v21, v2, v216                                // 0000000055A0: 042BB102
	v_cndmask_b32_e64 v21, v21, 0, s[36:37]                    // 0000000055A4: D1000015 00910115
	v_mfma_f32_32x32x64_f8f6f4 v[124:139], a[96:103], v[44:51], v[124:139]// 0000000055AC: D3AE007C 0DF25960
	ds_read_b128 a[80:83], v28 offset:1024                     // 0000000055B4: DBFE0400 5000001C
	ds_read_b128 a[84:87], v29 offset:1024                     // 0000000055BC: DBFE0400 5400001D
	ds_read_b128 a[88:91], v28 offset:2048                     // 0000000055C4: DBFE0800 5800001C
	ds_read_b128 a[92:95], v29 offset:2048                     // 0000000055CC: DBFE0800 5C00001D
	ds_read_b128 a[96:99], v28 offset:3072                     // 0000000055D4: DBFE0C00 6000001C
	ds_read_b128 a[100:103], v29 offset:3072                   // 0000000055DC: DBFE0C00 6400001D
	v_mov_b32_e32 v2, v216                                     // 0000000055E4: 7E0403D8
	v_mul_f32_e32 v212, s5, v216                               // 0000000055E8: 0BA9B005
	v_mul_f32_e32 v21, s5, v21                                 // 0000000055EC: 0A2A2A05
	v_exp_f32_e32 v21, v21                                     // 0000000055F0: 7E2A4115
	v_fma_f32 v60, v60, s5, -v212                              // 0000000055F4: D1CB003C 87500B3C
	v_fma_f32 v61, v61, s5, -v212                              // 0000000055FC: D1CB003D 87500B3D
	v_fma_f32 v62, v62, s5, -v212                              // 000000005604: D1CB003E 87500B3E
	v_fma_f32 v63, v63, s5, -v212                              // 00000000560C: D1CB003F 87500B3F
	v_fma_f32 v64, v64, s5, -v212                              // 000000005614: D1CB0040 87500B40
	v_mfma_f32_32x32x64_f8f6f4 v[140:155], a[104:111], v[44:51], v[140:155]// 00000000561C: D3AE008C 0E325968
	buffer_load_dwordx4 v217, s[20:23], 0 offen offset:128 lds // 000000005624: E05D1080 800500D9
	s_add_i32 m0, m0, 0x3c0                                    // 00000000562C: 817CFF7C 000003C0
	v_fma_f32 v65, v65, s5, -v212                              // 000000005634: D1CB0041 87500B41
	v_fma_f32 v66, v66, s5, -v212                              // 00000000563C: D1CB0042 87500B42
	v_fma_f32 v67, v67, s5, -v212                              // 000000005644: D1CB0043 87500B43
	v_fma_f32 v68, v68, s5, -v212                              // 00000000564C: D1CB0044 87500B44
	v_fma_f32 v69, v69, s5, -v212                              // 000000005654: D1CB0045 87500B45
	v_fma_f32 v70, v70, s5, -v212                              // 00000000565C: D1CB0046 87500B46
	v_fma_f32 v71, v71, s5, -v212                              // 000000005664: D1CB0047 87500B47
	v_fma_f32 v72, v72, s5, -v212                              // 00000000566C: D1CB0048 87500B48
	v_fma_f32 v73, v73, s5, -v212                              // 000000005674: D1CB0049 87500B49
	v_fma_f32 v74, v74, s5, -v212                              // 00000000567C: D1CB004A 87500B4A
	v_fma_f32 v75, v75, s5, -v212                              // 000000005684: D1CB004B 87500B4B
	v_exp_f32_e32 v60, v60                                     // 00000000568C: 7E78413C
	v_exp_f32_e32 v61, v61                                     // 000000005690: 7E7A413D
	v_mfma_f32_32x32x64_f8f6f4 v[156:171], a[112:119], v[44:51], v[156:171]// 000000005694: D3AE009C 0E725970
	ds_read_b128 a[104:107], v28 offset:4096                   // 00000000569C: DBFE1000 6800001C
	ds_read_b128 a[108:111], v29 offset:4096                   // 0000000056A4: DBFE1000 6C00001D
	ds_read_b128 a[112:115], v28 offset:5120                   // 0000000056AC: DBFE1400 7000001C
	ds_read_b128 a[116:119], v29 offset:5120                   // 0000000056B4: DBFE1400 7400001D
	ds_read_b128 a[120:123], v28 offset:6144                   // 0000000056BC: DBFE1800 7800001C
	ds_read_b128 a[124:127], v29 offset:6144                   // 0000000056C4: DBFE1800 7C00001D
	v_exp_f32_e32 v62, v62                                     // 0000000056CC: 7E7C413E
	v_exp_f32_e32 v63, v63                                     // 0000000056D0: 7E7E413F
	v_exp_f32_e32 v64, v64                                     // 0000000056D4: 7E804140
	v_exp_f32_e32 v65, v65                                     // 0000000056D8: 7E824141
	v_exp_f32_e32 v66, v66                                     // 0000000056DC: 7E844142
	v_mfma_f32_32x32x64_f8f6f4 v[172:187], a[120:127], v[44:51], v[172:187]// 0000000056E0: D3AE00AC 0EB25978
	buffer_load_dwordx4 v217, s[20:23], 0 offen offset:192 lds // 0000000056E8: E05D10C0 800500D9
	s_add_i32 m0, m0, 0x3c0                                    // 0000000056F0: 817CFF7C 000003C0
	v_exp_f32_e32 v67, v67                                     // 0000000056F8: 7E864143
	v_exp_f32_e32 v68, v68                                     // 0000000056FC: 7E884144
	v_exp_f32_e32 v69, v69                                     // 000000005700: 7E8A4145
	v_exp_f32_e32 v70, v70                                     // 000000005704: 7E8C4146
	v_exp_f32_e32 v71, v71                                     // 000000005708: 7E8E4147
	v_exp_f32_e32 v72, v72                                     // 00000000570C: 7E904148
	v_exp_f32_e32 v73, v73                                     // 000000005710: 7E924149
	v_mfma_f32_32x32x64_f8f6f4 v[188:203], a[128:135], v[44:51], v[188:203]// 000000005714: D3AE00BC 0EF25980
	v_exp_f32_e32 v74, v74                                     // 00000000571C: 7E94414A
	v_exp_f32_e32 v75, v75                                     // 000000005720: 7E96414B
	v_mul_f32_e32 v4, v21, v4                                  // 000000005724: 0A080915
	v_mov_b32_e32 v35, v60                                     // 000000005728: 7E46033C
	v_add_f32_e32 v35, v61, v35                                // 00000000572C: 0246473D
	v_add_f32_e32 v35, v62, v35                                // 000000005730: 0246473E
	v_add_f32_e32 v35, v63, v35                                // 000000005734: 0246473F
	v_add_f32_e32 v35, v64, v35                                // 000000005738: 02464740
	ds_read_b128 a[128:131], v28 offset:7168                   // 00000000573C: DBFE1C00 8000001C
	ds_read_b128 a[132:135], v29 offset:7168                   // 000000005744: DBFE1C00 8400001D
	ds_read_b128 a[136:139], v28 offset:8192                   // 00000000574C: DBFE2000 8800001C
	ds_read_b128 a[140:143], v29 offset:8192                   // 000000005754: DBFE2000 8C00001D
	v_add_f32_e32 v35, v65, v35                                // 00000000575C: 02464741
	v_add_f32_e32 v35, v66, v35                                // 000000005760: 02464742
	v_add_f32_e32 v35, v67, v35                                // 000000005764: 02464743
	;; [unrolled: 1-line block ×3, first 2 shown]
	v_add_f32_e32 v35, v69, v35                                // 00000000576C: 02464745
	v_add_f32_e32 v35, v70, v35                                // 000000005770: 02464746
	v_add_f32_e32 v35, v71, v35                                // 000000005774: 02464747
	v_add_f32_e32 v35, v72, v35                                // 000000005778: 02464748
	v_add_f32_e32 v35, v73, v35                                // 00000000577C: 02464749
	v_add_f32_e32 v35, v74, v35                                // 000000005780: 0246474A
	v_add_f32_e32 v35, v75, v35                                // 000000005784: 0246474B
	v_add_f32_e32 v4, v35, v4                                  // 000000005788: 02080923
	v_cvt_pk_fp8_f32 v60, v60, v61                             // 00000000578C: D2A2003C 00027B3C
	v_cvt_pk_fp8_f32 v60, v62, v63 op_sel:[0,0,1]              // 000000005794: D2A2403C 00027F3E
	v_cvt_pk_fp8_f32 v61, v64, v65                             // 00000000579C: D2A2003D 00028340
	v_cvt_pk_fp8_f32 v61, v66, v67 op_sel:[0,0,1]              // 0000000057A4: D2A2403D 00028742
	v_cvt_pk_fp8_f32 v62, v68, v69                             // 0000000057AC: D2A2003E 00028B44
	v_cvt_pk_fp8_f32 v62, v70, v71 op_sel:[0,0,1]              // 0000000057B4: D2A2403E 00028F46
	v_cvt_pk_fp8_f32 v63, v72, v73                             // 0000000057BC: D2A2003F 00029348
	v_cvt_pk_fp8_f32 v63, v74, v75 op_sel:[0,0,1]              // 0000000057C4: D2A2403F 0002974A
	s_waitcnt lgkmcnt(8)                                       // 0000000057CC: BF8CC87F
	v_mfma_f32_32x32x64_f8f6f4 v[44:59], a[72:79], a[0:7], 0   // 0000000057D0: D3AE002C 1A020148
	ds_write_b128 v43, v[60:63] offset:1024                    // 0000000057D8: D9BE0400 00003C2B
	v_mul_f32_e32 v76, v21, v76                                // 0000000057E0: 0A989915
	v_mul_f32_e32 v77, v21, v77                                // 0000000057E4: 0A9A9B15
	v_mul_f32_e32 v78, v21, v78                                // 0000000057E8: 0A9C9D15
	v_mul_f32_e32 v79, v21, v79                                // 0000000057EC: 0A9E9F15
	v_mul_f32_e32 v80, v21, v80                                // 0000000057F0: 0AA0A115
	v_mul_f32_e32 v81, v21, v81                                // 0000000057F4: 0AA2A315
	v_mul_f32_e32 v82, v21, v82                                // 0000000057F8: 0AA4A515
	v_mul_f32_e32 v83, v21, v83                                // 0000000057FC: 0AA6A715
	v_mul_f32_e32 v84, v21, v84                                // 000000005800: 0AA8A915
	v_mul_f32_e32 v85, v21, v85                                // 000000005804: 0AAAAB15
	v_mul_f32_e32 v86, v21, v86                                // 000000005808: 0AACAD15
	v_mul_f32_e32 v87, v21, v87                                // 00000000580C: 0AAEAF15
	v_mul_f32_e32 v88, v21, v88                                // 000000005810: 0AB0B115
	v_mul_f32_e32 v89, v21, v89                                // 000000005814: 0AB2B315
	v_mfma_f32_32x32x64_f8f6f4 v[44:59], a[80:87], a[8:15], v[44:59]// 000000005818: D3AE002C 1CB21150
	buffer_load_dword v32, v34, s[24:27], 0 offen              // 000000005820: E0501000 80062022
	buffer_load_dwordx4 v217, s[20:23], 0 offen offset:256 lds // 000000005828: E05D1100 800500D9
	s_add_i32 m0, m0, 0x3c0                                    // 000000005830: 817CFF7C 000003C0
	v_mul_f32_e32 v90, v21, v90                                // 000000005838: 0AB4B515
	v_mul_f32_e32 v91, v21, v91                                // 00000000583C: 0AB6B715
	v_mul_f32_e32 v92, v21, v92                                // 000000005840: 0AB8B915
	v_mul_f32_e32 v93, v21, v93                                // 000000005844: 0ABABB15
	v_mul_f32_e32 v94, v21, v94                                // 000000005848: 0ABCBD15
	v_mul_f32_e32 v95, v21, v95                                // 00000000584C: 0ABEBF15
	v_mov_b32_e32 v36, v21                                     // 000000005850: 7E480315
	v_mov_b32_e32 v37, v21                                     // 000000005854: 7E4A0315
	v_pk_mul_f32 v[140:141], v[36:37], v[140:141]              // 000000005858: D3B1408C 18031924
	v_pk_mul_f32 v[142:143], v[36:37], v[142:143]              // 000000005860: D3B1408E 18031D24
	s_waitcnt lgkmcnt(0)                                       // 000000005868: BF8CC07F
	s_barrier                                                  // 00000000586C: BF8A0000
	v_mfma_f32_32x32x64_f8f6f4 v[44:59], a[88:95], a[16:23], v[44:59]// 000000005870: D3AE002C 1CB22158
	ds_read_b128 v[60:63], v42 offset:1024                     // 000000005878: D9FE0400 3C00002A
	ds_read_b128 v[64:67], v42 offset:2048                     // 000000005880: D9FE0800 4000002A
	ds_read_b64_tr_b8 a[72:73], v13                            // 000000005888: DBC40000 4800000D
	ds_read_b64_tr_b8 a[74:75], v14                            // 000000005890: DBC40000 4A00000E
	ds_read_b64_tr_b8 a[76:77], v13 offset:18432               // 000000005898: DBC44800 4C00000D
	ds_read_b64_tr_b8 a[78:79], v14 offset:18432               // 0000000058A0: DBC44800 4E00000E
	ds_read_b64_tr_b8 a[80:81], v15                            // 0000000058A8: DBC40000 5000000F
	ds_read_b64_tr_b8 a[82:83], v16                            // 0000000058B0: DBC40000 52000010
	ds_read_b64_tr_b8 a[84:85], v15 offset:18432               // 0000000058B8: DBC44800 5400000F
	ds_read_b64_tr_b8 a[86:87], v16 offset:18432               // 0000000058C0: DBC44800 56000010
	v_mul_f32_e32 v96, v21, v96                                // 0000000058C8: 0AC0C115
	v_mul_f32_e32 v97, v21, v97                                // 0000000058CC: 0AC2C315
	v_mul_f32_e32 v98, v21, v98                                // 0000000058D0: 0AC4C515
	v_mul_f32_e32 v99, v21, v99                                // 0000000058D4: 0AC6C715
	v_mul_f32_e32 v100, v21, v100                              // 0000000058D8: 0AC8C915
	v_mul_f32_e32 v101, v21, v101                              // 0000000058DC: 0ACACB15
	v_mul_f32_e32 v102, v21, v102                              // 0000000058E0: 0ACCCD15
	v_mul_f32_e32 v103, v21, v103                              // 0000000058E4: 0ACECF15
	v_mul_f32_e32 v104, v21, v104                              // 0000000058E8: 0AD0D115
	v_mul_f32_e32 v105, v21, v105                              // 0000000058EC: 0AD2D315
	v_mul_f32_e32 v106, v21, v106                              // 0000000058F0: 0AD4D515
	v_mul_f32_e32 v107, v21, v107                              // 0000000058F4: 0AD6D715
	v_add_u32_e32 v34, s73, v34                                // 0000000058F8: 68444449
	v_mfma_f32_32x32x64_f8f6f4 v[44:59], a[96:103], a[24:31], v[44:59]// 0000000058FC: D3AE002C 1CB23160
	buffer_load_dwordx4 v217, s[20:23], 0 offen offset:320 lds // 000000005904: E05D1140 800500D9
	s_add_i32 m0, m0, 0x3c0                                    // 00000000590C: 817CFF7C 000003C0
	v_mul_f32_e32 v108, v21, v108                              // 000000005914: 0AD8D915
	v_mul_f32_e32 v109, v21, v109                              // 000000005918: 0ADADB15
	v_mul_f32_e32 v110, v21, v110                              // 00000000591C: 0ADCDD15
	v_mul_f32_e32 v111, v21, v111                              // 000000005920: 0ADEDF15
	v_mul_f32_e32 v112, v21, v112                              // 000000005924: 0AE0E115
	v_mul_f32_e32 v113, v21, v113                              // 000000005928: 0AE2E315
	v_mul_f32_e32 v114, v21, v114                              // 00000000592C: 0AE4E515
	v_mul_f32_e32 v115, v21, v115                              // 000000005930: 0AE6E715
	v_mul_f32_e32 v116, v21, v116                              // 000000005934: 0AE8E915
	v_mul_f32_e32 v117, v21, v117                              // 000000005938: 0AEAEB15
	v_mul_f32_e32 v118, v21, v118                              // 00000000593C: 0AECED15
	v_mul_f32_e32 v119, v21, v119                              // 000000005940: 0AEEEF15
	v_mfma_f32_32x32x64_f8f6f4 v[44:59], a[104:111], a[32:39], v[44:59]// 000000005944: D3AE002C 1CB24168
	ds_read_b64_tr_b8 a[88:89], v13 offset:1024                // 00000000594C: DBC40400 5800000D
	ds_read_b64_tr_b8 a[90:91], v14 offset:1024                // 000000005954: DBC40400 5A00000E
	ds_read_b64_tr_b8 a[92:93], v13 offset:19456               // 00000000595C: DBC44C00 5C00000D
	ds_read_b64_tr_b8 a[94:95], v14 offset:19456               // 000000005964: DBC44C00 5E00000E
	ds_read_b64_tr_b8 a[96:97], v15 offset:1024                // 00000000596C: DBC40400 6000000F
	ds_read_b64_tr_b8 a[98:99], v16 offset:1024                // 000000005974: DBC40400 62000010
	ds_read_b64_tr_b8 a[100:101], v15 offset:19456             // 00000000597C: DBC44C00 6400000F
	ds_read_b64_tr_b8 a[102:103], v16 offset:19456             // 000000005984: DBC44C00 66000010
	v_mul_f32_e32 v120, v21, v120                              // 00000000598C: 0AF0F115
	v_mul_f32_e32 v121, v21, v121                              // 000000005990: 0AF2F315
	v_mul_f32_e32 v122, v21, v122                              // 000000005994: 0AF4F515
	v_mul_f32_e32 v123, v21, v123                              // 000000005998: 0AF6F715
	v_mul_f32_e32 v124, v21, v124                              // 00000000599C: 0AF8F915
	v_mul_f32_e32 v125, v21, v125                              // 0000000059A0: 0AFAFB15
	v_mul_f32_e32 v126, v21, v126                              // 0000000059A4: 0AFCFD15
	v_mul_f32_e32 v127, v21, v127                              // 0000000059A8: 0AFEFF15
	v_mul_f32_e32 v128, v21, v128                              // 0000000059AC: 0B010115
	v_mul_f32_e32 v129, v21, v129                              // 0000000059B0: 0B030315
	v_mul_f32_e32 v130, v21, v130                              // 0000000059B4: 0B050515
	v_mul_f32_e32 v131, v21, v131                              // 0000000059B8: 0B070715
	v_mfma_f32_32x32x64_f8f6f4 v[44:59], a[112:119], a[40:47], v[44:59]// 0000000059BC: D3AE002C 1CB25170
	s_waitcnt lgkmcnt(0)                                       // 0000000059C4: BF8CC07F
	buffer_load_dwordx4 v217, s[20:23], 0 offen offset:384 lds // 0000000059C8: E05D1180 800500D9
	s_add_i32 m0, m0, 0x3c0                                    // 0000000059D0: 817CFF7C 000003C0
	v_mul_f32_e32 v132, v21, v132                              // 0000000059D8: 0B090915
	v_mul_f32_e32 v133, v21, v133                              // 0000000059DC: 0B0B0B15
	v_mul_f32_e32 v134, v21, v134                              // 0000000059E0: 0B0D0D15
	v_mul_f32_e32 v135, v21, v135                              // 0000000059E4: 0B0F0F15
	v_mul_f32_e32 v136, v21, v136                              // 0000000059E8: 0B111115
	v_mul_f32_e32 v137, v21, v137                              // 0000000059EC: 0B131315
	v_mul_f32_e32 v138, v21, v138                              // 0000000059F0: 0B151515
	v_mul_f32_e32 v139, v21, v139                              // 0000000059F4: 0B171715
	v_mfma_f32_32x32x64_f8f6f4 v[44:59], a[120:127], a[48:55], v[44:59]// 0000000059F8: D3AE002C 1CB26178
	ds_read_b64_tr_b8 a[104:105], v13 offset:2048              // 000000005A00: DBC40800 6800000D
	ds_read_b64_tr_b8 a[106:107], v14 offset:2048              // 000000005A08: DBC40800 6A00000E
	ds_read_b64_tr_b8 a[108:109], v13 offset:20480             // 000000005A10: DBC45000 6C00000D
	ds_read_b64_tr_b8 a[110:111], v14 offset:20480             // 000000005A18: DBC45000 6E00000E
	ds_read_b64_tr_b8 a[112:113], v15 offset:2048              // 000000005A20: DBC40800 7000000F
	ds_read_b64_tr_b8 a[114:115], v16 offset:2048              // 000000005A28: DBC40800 72000010
	ds_read_b64_tr_b8 a[116:117], v15 offset:20480             // 000000005A30: DBC45000 7400000F
	ds_read_b64_tr_b8 a[118:119], v16 offset:20480             // 000000005A38: DBC45000 76000010
	v_permlane32_swap_b32_e32 v60, v62                         // 000000005A40: 7E78B53E
	v_permlane32_swap_b32_e32 v61, v63                         // 000000005A44: 7E7AB53F
	v_swap_b32 v61, v62                                        // 000000005A48: 7E7AA33E
	v_permlane32_swap_b32_e32 v64, v66                         // 000000005A4C: 7E80B542
	v_permlane32_swap_b32_e32 v65, v67                         // 000000005A50: 7E82B543
	v_swap_b32 v65, v66                                        // 000000005A54: 7E82A342
	v_mfma_f32_32x32x64_f8f6f4 v[44:59], a[128:135], a[56:63], v[44:59]// 000000005A58: D3AE002C 1CB27180
	buffer_load_dwordx4 v217, s[20:23], 0 offen offset:448 lds // 000000005A60: E05D11C0 800500D9
	s_add_i32 m0, m0, 0x3c0                                    // 000000005A68: 817CFF7C 000003C0
	v_pk_mul_f32 v[144:145], v[36:37], v[144:145]              // 000000005A70: D3B14090 18032124
	v_pk_mul_f32 v[146:147], v[36:37], v[146:147]              // 000000005A78: D3B14092 18032524
	v_pk_mul_f32 v[148:149], v[36:37], v[148:149]              // 000000005A80: D3B14094 18032924
	v_pk_mul_f32 v[150:151], v[36:37], v[150:151]              // 000000005A88: D3B14096 18032D24
	v_pk_mul_f32 v[152:153], v[36:37], v[152:153]              // 000000005A90: D3B14098 18033124
	v_pk_mul_f32 v[154:155], v[36:37], v[154:155]              // 000000005A98: D3B1409A 18033524
	v_pk_mul_f32 v[156:157], v[36:37], v[156:157]              // 000000005AA0: D3B1409C 18033924
	v_pk_mul_f32 v[158:159], v[36:37], v[158:159]              // 000000005AA8: D3B1409E 18033D24
	v_pk_mul_f32 v[160:161], v[36:37], v[160:161]              // 000000005AB0: D3B140A0 18034124
	v_pk_mul_f32 v[162:163], v[36:37], v[162:163]              // 000000005AB8: D3B140A2 18034524
	v_pk_mul_f32 v[164:165], v[36:37], v[164:165]              // 000000005AC0: D3B140A4 18034924
	v_pk_mul_f32 v[166:167], v[36:37], v[166:167]              // 000000005AC8: D3B140A6 18034D24
	v_pk_mul_f32 v[168:169], v[36:37], v[168:169]              // 000000005AD0: D3B140A8 18035124
	v_pk_mul_f32 v[170:171], v[36:37], v[170:171]              // 000000005AD8: D3B140AA 18035524
	v_pk_mul_f32 v[172:173], v[36:37], v[172:173]              // 000000005AE0: D3B140AC 18035924
	v_pk_mul_f32 v[174:175], v[36:37], v[174:175]              // 000000005AE8: D3B140AE 18035D24
	v_pk_mul_f32 v[176:177], v[36:37], v[176:177]              // 000000005AF0: D3B140B0 18036124
	v_pk_mul_f32 v[178:179], v[36:37], v[178:179]              // 000000005AF8: D3B140B2 18036524
	v_pk_mul_f32 v[180:181], v[36:37], v[180:181]              // 000000005B00: D3B140B4 18036924
	v_pk_mul_f32 v[182:183], v[36:37], v[182:183]              // 000000005B08: D3B140B6 18036D24
	v_pk_mul_f32 v[184:185], v[36:37], v[184:185]              // 000000005B10: D3B140B8 18037124
	v_pk_mul_f32 v[186:187], v[36:37], v[186:187]              // 000000005B18: D3B140BA 18037524
	v_pk_mul_f32 v[188:189], v[36:37], v[188:189]              // 000000005B20: D3B140BC 18037924
	v_pk_mul_f32 v[190:191], v[36:37], v[190:191]              // 000000005B28: D3B140BE 18037D24
	v_pk_mul_f32 v[192:193], v[36:37], v[192:193]              // 000000005B30: D3B140C0 18038124
	v_pk_mul_f32 v[194:195], v[36:37], v[194:195]              // 000000005B38: D3B140C2 18038524
	v_pk_mul_f32 v[196:197], v[36:37], v[196:197]              // 000000005B40: D3B140C4 18038924
	v_pk_mul_f32 v[198:199], v[36:37], v[198:199]              // 000000005B48: D3B140C6 18038D24
	v_pk_mul_f32 v[200:201], v[36:37], v[200:201]              // 000000005B50: D3B140C8 18039124
	v_pk_mul_f32 v[202:203], v[36:37], v[202:203]              // 000000005B58: D3B140CA 18039524
	v_mfma_f32_32x32x64_f8f6f4 v[44:59], a[136:143], a[64:71], v[44:59]// 000000005B60: D3AE002C 1CB28188
	ds_read_b64_tr_b8 a[120:121], v13 offset:3072              // 000000005B68: DBC40C00 7800000D
	ds_read_b64_tr_b8 a[122:123], v14 offset:3072              // 000000005B70: DBC40C00 7A00000E
	ds_read_b64_tr_b8 a[124:125], v13 offset:21504             // 000000005B78: DBC45400 7C00000D
	ds_read_b64_tr_b8 a[126:127], v14 offset:21504             // 000000005B80: DBC45400 7E00000E
	ds_read_b64_tr_b8 a[128:129], v15 offset:3072              // 000000005B88: DBC40C00 8000000F
	ds_read_b64_tr_b8 a[130:131], v16 offset:3072              // 000000005B90: DBC40C00 82000010
	ds_read_b64_tr_b8 a[132:133], v15 offset:21504             // 000000005B98: DBC45400 8400000F
	ds_read_b64_tr_b8 a[134:135], v16 offset:21504             // 000000005BA0: DBC45400 86000010
	buffer_load_dwordx4 v217, s[20:23], 0 offen offset:512 lds // 000000005BA8: E05D1200 800500D9
	s_add_i32 m0, m0, 0x3c0                                    // 000000005BB0: 817CFF7C 000003C0
	s_addk_i32 s70, 0x1                                        // 000000005BB8: B7460001
	s_cmp_lt_i32 s70, s71                                      // 000000005BBC: BF044746
	s_cbranch_scc0 label_3184                                  // 000000005BC0: BF84FE30
	v_mul_u32_u24_e64 v217, v31, s68                           // 000000005BC4: D10800D9 0000891F
	v_add_u32_e32 v217, v217, v1                               // 000000005BCC: 69B203D9
	s_waitcnt vmcnt(10)                                        // 000000005BD0: BF8C0F7A
	s_barrier                                                  // 000000005BD4: BF8A0000
	s_waitcnt lgkmcnt(8)                                       // 000000005BD8: BF8CC87F
	v_mfma_f32_32x32x64_f8f6f4 v[76:91], a[72:79], v[60:67], v[76:91]// 000000005BDC: D3AE004C 0D327948
	v_mov_b32_e32 v213, v44                                    // 000000005BE4: 7FAA032C
	v_max3_f32 v213, v44, v45, v213                            // 000000005BE8: D1D300D5 07565B2C
	v_max3_f32 v213, v46, v47, v213                            // 000000005BF0: D1D300D5 07565F2E
	v_max3_f32 v213, v48, v49, v213                            // 000000005BF8: D1D300D5 07566330
	v_max3_f32 v213, v50, v51, v213                            // 000000005C00: D1D300D5 07566732
	v_max3_f32 v213, v52, v53, v213                            // 000000005C08: D1D300D5 07566B34
	v_max3_f32 v213, v54, v55, v213                            // 000000005C10: D1D300D5 07566F36
	v_max3_f32 v213, v56, v57, v213                            // 000000005C18: D1D300D5 07567338
	v_max3_f32 v213, v58, v59, v213                            // 000000005C20: D1D300D5 0756773A
	v_mov_b32_e32 v35, v213                                    // 000000005C28: 7E4603D5
	v_mov_b32_e32 v36, v213                                    // 000000005C2C: 7E4803D5
	s_nop 0                                                    // 000000005C30: BF800000
	ds_read_b128 a[72:75], v22                                 // 000000005C34: DBFE0000 48000016
	ds_read_b128 a[76:79], v23                                 // 000000005C3C: DBFE0000 4C000017
	v_mfma_f32_32x32x64_f8f6f4 v[92:107], a[80:87], v[60:67], v[92:107]// 000000005C44: D3AE005C 0D727950
	v_permlane32_swap_b32_e32 v35, v36                         // 000000005C4C: 7E46B524
	v_max3_f32 v213, v35, v36, v213                            // 000000005C50: D1D300D5 07564923
	ds_write_b32 v41, v213                                     // 000000005C58: D81A0000 0000D529
	s_mov_b32 s56, 0x14000                                     // 000000005C60: BEB800FF 00014000
	s_mul_i32 s57, s7, 0x2400                                  // 000000005C68: 9239FF07 00002400
	s_add_u32 m0, s56, s57                                     // 000000005C70: 807C3938
	buffer_load_dwordx4 v217, s[20:23], 0 offen lds            // 000000005C74: E05D1000 800500D9
	s_add_i32 m0, m0, 0x3c0                                    // 000000005C7C: 817CFF7C 000003C0
	buffer_load_dwordx4 v217, s[20:23], 0 offen offset:64 lds  // 000000005C84: E05D1040 800500D9
	s_add_i32 m0, m0, 0x3c0                                    // 000000005C8C: 817CFF7C 000003C0
	s_waitcnt lgkmcnt(0)                                       // 000000005C94: BF8CC07F
	s_barrier                                                  // 000000005C98: BF8A0000
	v_mfma_f32_32x32x64_f8f6f4 v[108:123], a[88:95], v[60:67], v[108:123]// 000000005C9C: D3AE006C 0DB27958
	ds_read_b32 v35, v40                                       // 000000005CA4: D86C0000 23000028
	ds_read_b32 v36, v40 offset:256                            // 000000005CAC: D86C0100 24000028
	s_waitcnt lgkmcnt(0)                                       // 000000005CB4: BF8CC07F
	v_max3_f32 v213, v35, v36, v213                            // 000000005CB8: D1D300D5 07564923
	v_mov_b32_e32 v35, 0xff800000                              // 000000005CC0: 7E4602FF FF800000
	v_cmp_eq_u32_e64 s[36:37], v35, v2                         // 000000005CC8: D0CA0024 00020523
	v_max_f32_e32 v216, v213, v2                               // 000000005CD0: 17B005D5
	v_sub_f32_e32 v21, v2, v216                                // 000000005CD4: 042BB102
	v_cndmask_b32_e64 v21, v21, 0, s[36:37]                    // 000000005CD8: D1000015 00910115
	v_mfma_f32_32x32x64_f8f6f4 v[124:139], a[96:103], v[60:67], v[124:139]// 000000005CE0: D3AE007C 0DF27960
	ds_read_b128 a[80:83], v22 offset:1024                     // 000000005CE8: DBFE0400 50000016
	ds_read_b128 a[84:87], v23 offset:1024                     // 000000005CF0: DBFE0400 54000017
	ds_read_b128 a[88:91], v22 offset:2048                     // 000000005CF8: DBFE0800 58000016
	ds_read_b128 a[92:95], v23 offset:2048                     // 000000005D00: DBFE0800 5C000017
	ds_read_b128 a[96:99], v22 offset:3072                     // 000000005D08: DBFE0C00 60000016
	ds_read_b128 a[100:103], v23 offset:3072                   // 000000005D10: DBFE0C00 64000017
	v_mov_b32_e32 v2, v216                                     // 000000005D18: 7E0403D8
	v_mul_f32_e32 v212, s5, v216                               // 000000005D1C: 0BA9B005
	v_mul_f32_e32 v21, s5, v21                                 // 000000005D20: 0A2A2A05
	v_exp_f32_e32 v21, v21                                     // 000000005D24: 7E2A4115
	v_fma_f32 v44, v44, s5, -v212                              // 000000005D28: D1CB002C 87500B2C
	v_fma_f32 v45, v45, s5, -v212                              // 000000005D30: D1CB002D 87500B2D
	v_fma_f32 v46, v46, s5, -v212                              // 000000005D38: D1CB002E 87500B2E
	v_fma_f32 v47, v47, s5, -v212                              // 000000005D40: D1CB002F 87500B2F
	v_fma_f32 v48, v48, s5, -v212                              // 000000005D48: D1CB0030 87500B30
	v_mfma_f32_32x32x64_f8f6f4 v[140:155], a[104:111], v[60:67], v[140:155]// 000000005D50: D3AE008C 0E327968
	buffer_load_dwordx4 v217, s[20:23], 0 offen offset:128 lds // 000000005D58: E05D1080 800500D9
	s_add_i32 m0, m0, 0x3c0                                    // 000000005D60: 817CFF7C 000003C0
	v_fma_f32 v49, v49, s5, -v212                              // 000000005D68: D1CB0031 87500B31
	v_fma_f32 v50, v50, s5, -v212                              // 000000005D70: D1CB0032 87500B32
	v_fma_f32 v51, v51, s5, -v212                              // 000000005D78: D1CB0033 87500B33
	v_fma_f32 v52, v52, s5, -v212                              // 000000005D80: D1CB0034 87500B34
	v_fma_f32 v53, v53, s5, -v212                              // 000000005D88: D1CB0035 87500B35
	v_fma_f32 v54, v54, s5, -v212                              // 000000005D90: D1CB0036 87500B36
	v_fma_f32 v55, v55, s5, -v212                              // 000000005D98: D1CB0037 87500B37
	v_fma_f32 v56, v56, s5, -v212                              // 000000005DA0: D1CB0038 87500B38
	v_fma_f32 v57, v57, s5, -v212                              // 000000005DA8: D1CB0039 87500B39
	v_fma_f32 v58, v58, s5, -v212                              // 000000005DB0: D1CB003A 87500B3A
	v_fma_f32 v59, v59, s5, -v212                              // 000000005DB8: D1CB003B 87500B3B
	v_exp_f32_e32 v44, v44                                     // 000000005DC0: 7E58412C
	v_exp_f32_e32 v45, v45                                     // 000000005DC4: 7E5A412D
	v_mfma_f32_32x32x64_f8f6f4 v[156:171], a[112:119], v[60:67], v[156:171]// 000000005DC8: D3AE009C 0E727970
	ds_read_b128 a[104:107], v22 offset:4096                   // 000000005DD0: DBFE1000 68000016
	ds_read_b128 a[108:111], v23 offset:4096                   // 000000005DD8: DBFE1000 6C000017
	ds_read_b128 a[112:115], v22 offset:5120                   // 000000005DE0: DBFE1400 70000016
	ds_read_b128 a[116:119], v23 offset:5120                   // 000000005DE8: DBFE1400 74000017
	ds_read_b128 a[120:123], v22 offset:6144                   // 000000005DF0: DBFE1800 78000016
	ds_read_b128 a[124:127], v23 offset:6144                   // 000000005DF8: DBFE1800 7C000017
	v_exp_f32_e32 v46, v46                                     // 000000005E00: 7E5C412E
	v_exp_f32_e32 v47, v47                                     // 000000005E04: 7E5E412F
	v_exp_f32_e32 v48, v48                                     // 000000005E08: 7E604130
	v_exp_f32_e32 v49, v49                                     // 000000005E0C: 7E624131
	v_exp_f32_e32 v50, v50                                     // 000000005E10: 7E644132
	v_mfma_f32_32x32x64_f8f6f4 v[172:187], a[120:127], v[60:67], v[172:187]// 000000005E14: D3AE00AC 0EB27978
	buffer_load_dwordx4 v217, s[20:23], 0 offen offset:192 lds // 000000005E1C: E05D10C0 800500D9
	s_add_i32 m0, m0, 0x3c0                                    // 000000005E24: 817CFF7C 000003C0
	v_exp_f32_e32 v51, v51                                     // 000000005E2C: 7E664133
	v_exp_f32_e32 v52, v52                                     // 000000005E30: 7E684134
	v_exp_f32_e32 v53, v53                                     // 000000005E34: 7E6A4135
	v_exp_f32_e32 v54, v54                                     // 000000005E38: 7E6C4136
	v_exp_f32_e32 v55, v55                                     // 000000005E3C: 7E6E4137
	v_exp_f32_e32 v56, v56                                     // 000000005E40: 7E704138
	v_exp_f32_e32 v57, v57                                     // 000000005E44: 7E724139
	v_mfma_f32_32x32x64_f8f6f4 v[188:203], a[128:135], v[60:67], v[188:203]// 000000005E48: D3AE00BC 0EF27980
	v_exp_f32_e32 v58, v58                                     // 000000005E50: 7E74413A
	v_exp_f32_e32 v59, v59                                     // 000000005E54: 7E76413B
	v_mul_f32_e32 v4, v21, v4                                  // 000000005E58: 0A080915
	v_mov_b32_e32 v35, v44                                     // 000000005E5C: 7E46032C
	v_add_f32_e32 v35, v45, v35                                // 000000005E60: 0246472D
	v_add_f32_e32 v35, v46, v35                                // 000000005E64: 0246472E
	v_add_f32_e32 v35, v47, v35                                // 000000005E68: 0246472F
	v_add_f32_e32 v35, v48, v35                                // 000000005E6C: 02464730
	ds_read_b128 a[128:131], v22 offset:7168                   // 000000005E70: DBFE1C00 80000016
	ds_read_b128 a[132:135], v23 offset:7168                   // 000000005E78: DBFE1C00 84000017
	ds_read_b128 a[136:139], v22 offset:8192                   // 000000005E80: DBFE2000 88000016
	ds_read_b128 a[140:143], v23 offset:8192                   // 000000005E88: DBFE2000 8C000017
	v_add_f32_e32 v35, v49, v35                                // 000000005E90: 02464731
	v_add_f32_e32 v35, v50, v35                                // 000000005E94: 02464732
	v_add_f32_e32 v35, v51, v35                                // 000000005E98: 02464733
	v_add_f32_e32 v35, v52, v35                                // 000000005E9C: 02464734
	v_add_f32_e32 v35, v53, v35                                // 000000005EA0: 02464735
	v_add_f32_e32 v35, v54, v35                                // 000000005EA4: 02464736
	v_add_f32_e32 v35, v55, v35                                // 000000005EA8: 02464737
	v_add_f32_e32 v35, v56, v35                                // 000000005EAC: 02464738
	v_add_f32_e32 v35, v57, v35                                // 000000005EB0: 02464739
	v_add_f32_e32 v35, v58, v35                                // 000000005EB4: 0246473A
	v_add_f32_e32 v35, v59, v35                                // 000000005EB8: 0246473B
	v_add_f32_e32 v4, v35, v4                                  // 000000005EBC: 02080923
	v_cvt_pk_fp8_f32 v44, v44, v45                             // 000000005EC0: D2A2002C 00025B2C
	v_cvt_pk_fp8_f32 v44, v46, v47 op_sel:[0,0,1]              // 000000005EC8: D2A2402C 00025F2E
	v_cvt_pk_fp8_f32 v45, v48, v49                             // 000000005ED0: D2A2002D 00026330
	v_cvt_pk_fp8_f32 v45, v50, v51 op_sel:[0,0,1]              // 000000005ED8: D2A2402D 00026732
	v_cvt_pk_fp8_f32 v46, v52, v53                             // 000000005EE0: D2A2002E 00026B34
	v_cvt_pk_fp8_f32 v46, v54, v55 op_sel:[0,0,1]              // 000000005EE8: D2A2402E 00026F36
	v_cvt_pk_fp8_f32 v47, v56, v57                             // 000000005EF0: D2A2002F 00027338
	v_cvt_pk_fp8_f32 v47, v58, v59 op_sel:[0,0,1]              // 000000005EF8: D2A2402F 0002773A
	s_waitcnt lgkmcnt(8)                                       // 000000005F00: BF8CC87F
	v_mfma_f32_32x32x64_f8f6f4 v[60:75], a[72:79], a[0:7], 0   // 000000005F04: D3AE003C 1A020148
	ds_write_b128 v43, v[44:47] offset:1024                    // 000000005F0C: D9BE0400 00002C2B
	v_mul_f32_e32 v76, v21, v76                                // 000000005F14: 0A989915
	v_mul_f32_e32 v77, v21, v77                                // 000000005F18: 0A9A9B15
	v_mul_f32_e32 v78, v21, v78                                // 000000005F1C: 0A9C9D15
	v_mul_f32_e32 v79, v21, v79                                // 000000005F20: 0A9E9F15
	v_mul_f32_e32 v80, v21, v80                                // 000000005F24: 0AA0A115
	v_mul_f32_e32 v81, v21, v81                                // 000000005F28: 0AA2A315
	v_mul_f32_e32 v82, v21, v82                                // 000000005F2C: 0AA4A515
	v_mul_f32_e32 v83, v21, v83                                // 000000005F30: 0AA6A715
	v_mul_f32_e32 v84, v21, v84                                // 000000005F34: 0AA8A915
	v_mul_f32_e32 v85, v21, v85                                // 000000005F38: 0AAAAB15
	v_mul_f32_e32 v86, v21, v86                                // 000000005F3C: 0AACAD15
	v_mul_f32_e32 v87, v21, v87                                // 000000005F40: 0AAEAF15
	v_mul_f32_e32 v88, v21, v88                                // 000000005F44: 0AB0B115
	v_mul_f32_e32 v89, v21, v89                                // 000000005F48: 0AB2B315
	v_mfma_f32_32x32x64_f8f6f4 v[60:75], a[80:87], a[8:15], v[60:75]// 000000005F4C: D3AE003C 1CF21150
	buffer_load_dword v33, v34, s[24:27], 0 offen              // 000000005F54: E0501000 80062122
	buffer_load_dwordx4 v217, s[20:23], 0 offen offset:256 lds // 000000005F5C: E05D1100 800500D9
	s_add_i32 m0, m0, 0x3c0                                    // 000000005F64: 817CFF7C 000003C0
	v_mul_f32_e32 v90, v21, v90                                // 000000005F6C: 0AB4B515
	v_mul_f32_e32 v91, v21, v91                                // 000000005F70: 0AB6B715
	v_mul_f32_e32 v92, v21, v92                                // 000000005F74: 0AB8B915
	v_mul_f32_e32 v93, v21, v93                                // 000000005F78: 0ABABB15
	v_mul_f32_e32 v94, v21, v94                                // 000000005F7C: 0ABCBD15
	v_mul_f32_e32 v95, v21, v95                                // 000000005F80: 0ABEBF15
	v_mov_b32_e32 v36, v21                                     // 000000005F84: 7E480315
	v_mov_b32_e32 v37, v21                                     // 000000005F88: 7E4A0315
	v_pk_mul_f32 v[140:141], v[36:37], v[140:141]              // 000000005F8C: D3B1408C 18031924
	v_pk_mul_f32 v[142:143], v[36:37], v[142:143]              // 000000005F94: D3B1408E 18031D24
	s_waitcnt lgkmcnt(0)                                       // 000000005F9C: BF8CC07F
	s_barrier                                                  // 000000005FA0: BF8A0000
	v_mfma_f32_32x32x64_f8f6f4 v[60:75], a[88:95], a[16:23], v[60:75]// 000000005FA4: D3AE003C 1CF22158
	ds_read_b128 v[44:47], v42 offset:1024                     // 000000005FAC: D9FE0400 2C00002A
	ds_read_b128 v[48:51], v42 offset:2048                     // 000000005FB4: D9FE0800 3000002A
	ds_read_b64_tr_b8 a[72:73], v17                            // 000000005FBC: DBC40000 48000011
	ds_read_b64_tr_b8 a[74:75], v18                            // 000000005FC4: DBC40000 4A000012
	ds_read_b64_tr_b8 a[76:77], v17 offset:18432               // 000000005FCC: DBC44800 4C000011
	ds_read_b64_tr_b8 a[78:79], v18 offset:18432               // 000000005FD4: DBC44800 4E000012
	ds_read_b64_tr_b8 a[80:81], v19                            // 000000005FDC: DBC40000 50000013
	ds_read_b64_tr_b8 a[82:83], v20                            // 000000005FE4: DBC40000 52000014
	ds_read_b64_tr_b8 a[84:85], v19 offset:18432               // 000000005FEC: DBC44800 54000013
	ds_read_b64_tr_b8 a[86:87], v20 offset:18432               // 000000005FF4: DBC44800 56000014
	v_mul_f32_e32 v96, v21, v96                                // 000000005FFC: 0AC0C115
	v_mul_f32_e32 v97, v21, v97                                // 000000006000: 0AC2C315
	v_mul_f32_e32 v98, v21, v98                                // 000000006004: 0AC4C515
	v_mul_f32_e32 v99, v21, v99                                // 000000006008: 0AC6C715
	v_mul_f32_e32 v100, v21, v100                              // 00000000600C: 0AC8C915
	v_mul_f32_e32 v101, v21, v101                              // 000000006010: 0ACACB15
	v_mul_f32_e32 v102, v21, v102                              // 000000006014: 0ACCCD15
	v_mul_f32_e32 v103, v21, v103                              // 000000006018: 0ACECF15
	v_mul_f32_e32 v104, v21, v104                              // 00000000601C: 0AD0D115
	v_mul_f32_e32 v105, v21, v105                              // 000000006020: 0AD2D315
	v_mul_f32_e32 v106, v21, v106                              // 000000006024: 0AD4D515
	v_mul_f32_e32 v107, v21, v107                              // 000000006028: 0AD6D715
	v_add_u32_e32 v34, s73, v34                                // 00000000602C: 68444449
	v_mfma_f32_32x32x64_f8f6f4 v[60:75], a[96:103], a[24:31], v[60:75]// 000000006030: D3AE003C 1CF23160
	buffer_load_dwordx4 v217, s[20:23], 0 offen offset:320 lds // 000000006038: E05D1140 800500D9
	s_add_i32 m0, m0, 0x3c0                                    // 000000006040: 817CFF7C 000003C0
	v_mul_f32_e32 v108, v21, v108                              // 000000006048: 0AD8D915
	v_mul_f32_e32 v109, v21, v109                              // 00000000604C: 0ADADB15
	v_mul_f32_e32 v110, v21, v110                              // 000000006050: 0ADCDD15
	v_mul_f32_e32 v111, v21, v111                              // 000000006054: 0ADEDF15
	v_mul_f32_e32 v112, v21, v112                              // 000000006058: 0AE0E115
	v_mul_f32_e32 v113, v21, v113                              // 00000000605C: 0AE2E315
	v_mul_f32_e32 v114, v21, v114                              // 000000006060: 0AE4E515
	v_mul_f32_e32 v115, v21, v115                              // 000000006064: 0AE6E715
	v_mul_f32_e32 v116, v21, v116                              // 000000006068: 0AE8E915
	v_mul_f32_e32 v117, v21, v117                              // 00000000606C: 0AEAEB15
	v_mul_f32_e32 v118, v21, v118                              // 000000006070: 0AECED15
	v_mul_f32_e32 v119, v21, v119                              // 000000006074: 0AEEEF15
	v_mfma_f32_32x32x64_f8f6f4 v[60:75], a[104:111], a[32:39], v[60:75]// 000000006078: D3AE003C 1CF24168
	ds_read_b64_tr_b8 a[88:89], v17 offset:1024                // 000000006080: DBC40400 58000011
	ds_read_b64_tr_b8 a[90:91], v18 offset:1024                // 000000006088: DBC40400 5A000012
	ds_read_b64_tr_b8 a[92:93], v17 offset:19456               // 000000006090: DBC44C00 5C000011
	ds_read_b64_tr_b8 a[94:95], v18 offset:19456               // 000000006098: DBC44C00 5E000012
	ds_read_b64_tr_b8 a[96:97], v19 offset:1024                // 0000000060A0: DBC40400 60000013
	ds_read_b64_tr_b8 a[98:99], v20 offset:1024                // 0000000060A8: DBC40400 62000014
	ds_read_b64_tr_b8 a[100:101], v19 offset:19456             // 0000000060B0: DBC44C00 64000013
	ds_read_b64_tr_b8 a[102:103], v20 offset:19456             // 0000000060B8: DBC44C00 66000014
	v_mul_f32_e32 v120, v21, v120                              // 0000000060C0: 0AF0F115
	v_mul_f32_e32 v121, v21, v121                              // 0000000060C4: 0AF2F315
	v_mul_f32_e32 v122, v21, v122                              // 0000000060C8: 0AF4F515
	v_mul_f32_e32 v123, v21, v123                              // 0000000060CC: 0AF6F715
	v_mul_f32_e32 v124, v21, v124                              // 0000000060D0: 0AF8F915
	v_mul_f32_e32 v125, v21, v125                              // 0000000060D4: 0AFAFB15
	v_mul_f32_e32 v126, v21, v126                              // 0000000060D8: 0AFCFD15
	v_mul_f32_e32 v127, v21, v127                              // 0000000060DC: 0AFEFF15
	v_mul_f32_e32 v128, v21, v128                              // 0000000060E0: 0B010115
	v_mul_f32_e32 v129, v21, v129                              // 0000000060E4: 0B030315
	v_mul_f32_e32 v130, v21, v130                              // 0000000060E8: 0B050515
	v_mul_f32_e32 v131, v21, v131                              // 0000000060EC: 0B070715
	v_mfma_f32_32x32x64_f8f6f4 v[60:75], a[112:119], a[40:47], v[60:75]// 0000000060F0: D3AE003C 1CF25170
	s_waitcnt lgkmcnt(0)                                       // 0000000060F8: BF8CC07F
	buffer_load_dwordx4 v217, s[20:23], 0 offen offset:384 lds // 0000000060FC: E05D1180 800500D9
	s_add_i32 m0, m0, 0x3c0                                    // 000000006104: 817CFF7C 000003C0
	v_mul_f32_e32 v132, v21, v132                              // 00000000610C: 0B090915
	v_mul_f32_e32 v133, v21, v133                              // 000000006110: 0B0B0B15
	v_mul_f32_e32 v134, v21, v134                              // 000000006114: 0B0D0D15
	v_mul_f32_e32 v135, v21, v135                              // 000000006118: 0B0F0F15
	v_mul_f32_e32 v136, v21, v136                              // 00000000611C: 0B111115
	v_mul_f32_e32 v137, v21, v137                              // 000000006120: 0B131315
	v_mul_f32_e32 v138, v21, v138                              // 000000006124: 0B151515
	v_mul_f32_e32 v139, v21, v139                              // 000000006128: 0B171715
	v_mfma_f32_32x32x64_f8f6f4 v[60:75], a[120:127], a[48:55], v[60:75]// 00000000612C: D3AE003C 1CF26178
	ds_read_b64_tr_b8 a[104:105], v17 offset:2048              // 000000006134: DBC40800 68000011
	ds_read_b64_tr_b8 a[106:107], v18 offset:2048              // 00000000613C: DBC40800 6A000012
	ds_read_b64_tr_b8 a[108:109], v17 offset:20480             // 000000006144: DBC45000 6C000011
	ds_read_b64_tr_b8 a[110:111], v18 offset:20480             // 00000000614C: DBC45000 6E000012
	ds_read_b64_tr_b8 a[112:113], v19 offset:2048              // 000000006154: DBC40800 70000013
	ds_read_b64_tr_b8 a[114:115], v20 offset:2048              // 00000000615C: DBC40800 72000014
	ds_read_b64_tr_b8 a[116:117], v19 offset:20480             // 000000006164: DBC45000 74000013
	ds_read_b64_tr_b8 a[118:119], v20 offset:20480             // 00000000616C: DBC45000 76000014
	v_permlane32_swap_b32_e32 v44, v46                         // 000000006174: 7E58B52E
	v_permlane32_swap_b32_e32 v45, v47                         // 000000006178: 7E5AB52F
	v_swap_b32 v45, v46                                        // 00000000617C: 7E5AA32E
	v_permlane32_swap_b32_e32 v48, v50                         // 000000006180: 7E60B532
	v_permlane32_swap_b32_e32 v49, v51                         // 000000006184: 7E62B533
	v_swap_b32 v49, v50                                        // 000000006188: 7E62A332
	v_mfma_f32_32x32x64_f8f6f4 v[60:75], a[128:135], a[56:63], v[60:75]// 00000000618C: D3AE003C 1CF27180
	buffer_load_dwordx4 v217, s[20:23], 0 offen offset:448 lds // 000000006194: E05D11C0 800500D9
	s_add_i32 m0, m0, 0x3c0                                    // 00000000619C: 817CFF7C 000003C0
	v_pk_mul_f32 v[144:145], v[36:37], v[144:145]              // 0000000061A4: D3B14090 18032124
	v_pk_mul_f32 v[146:147], v[36:37], v[146:147]              // 0000000061AC: D3B14092 18032524
	v_pk_mul_f32 v[148:149], v[36:37], v[148:149]              // 0000000061B4: D3B14094 18032924
	v_pk_mul_f32 v[150:151], v[36:37], v[150:151]              // 0000000061BC: D3B14096 18032D24
	v_pk_mul_f32 v[152:153], v[36:37], v[152:153]              // 0000000061C4: D3B14098 18033124
	v_pk_mul_f32 v[154:155], v[36:37], v[154:155]              // 0000000061CC: D3B1409A 18033524
	v_pk_mul_f32 v[156:157], v[36:37], v[156:157]              // 0000000061D4: D3B1409C 18033924
	v_pk_mul_f32 v[158:159], v[36:37], v[158:159]              // 0000000061DC: D3B1409E 18033D24
	v_pk_mul_f32 v[160:161], v[36:37], v[160:161]              // 0000000061E4: D3B140A0 18034124
	v_pk_mul_f32 v[162:163], v[36:37], v[162:163]              // 0000000061EC: D3B140A2 18034524
	v_pk_mul_f32 v[164:165], v[36:37], v[164:165]              // 0000000061F4: D3B140A4 18034924
	v_pk_mul_f32 v[166:167], v[36:37], v[166:167]              // 0000000061FC: D3B140A6 18034D24
	v_pk_mul_f32 v[168:169], v[36:37], v[168:169]              // 000000006204: D3B140A8 18035124
	v_pk_mul_f32 v[170:171], v[36:37], v[170:171]              // 00000000620C: D3B140AA 18035524
	v_pk_mul_f32 v[172:173], v[36:37], v[172:173]              // 000000006214: D3B140AC 18035924
	v_pk_mul_f32 v[174:175], v[36:37], v[174:175]              // 00000000621C: D3B140AE 18035D24
	v_pk_mul_f32 v[176:177], v[36:37], v[176:177]              // 000000006224: D3B140B0 18036124
	v_pk_mul_f32 v[178:179], v[36:37], v[178:179]              // 00000000622C: D3B140B2 18036524
	v_pk_mul_f32 v[180:181], v[36:37], v[180:181]              // 000000006234: D3B140B4 18036924
	v_pk_mul_f32 v[182:183], v[36:37], v[182:183]              // 00000000623C: D3B140B6 18036D24
	v_pk_mul_f32 v[184:185], v[36:37], v[184:185]              // 000000006244: D3B140B8 18037124
	v_pk_mul_f32 v[186:187], v[36:37], v[186:187]              // 00000000624C: D3B140BA 18037524
	v_pk_mul_f32 v[188:189], v[36:37], v[188:189]              // 000000006254: D3B140BC 18037924
	v_pk_mul_f32 v[190:191], v[36:37], v[190:191]              // 00000000625C: D3B140BE 18037D24
	v_pk_mul_f32 v[192:193], v[36:37], v[192:193]              // 000000006264: D3B140C0 18038124
	v_pk_mul_f32 v[194:195], v[36:37], v[194:195]              // 00000000626C: D3B140C2 18038524
	v_pk_mul_f32 v[196:197], v[36:37], v[196:197]              // 000000006274: D3B140C4 18038924
	v_pk_mul_f32 v[198:199], v[36:37], v[198:199]              // 00000000627C: D3B140C6 18038D24
	v_pk_mul_f32 v[200:201], v[36:37], v[200:201]              // 000000006284: D3B140C8 18039124
	v_pk_mul_f32 v[202:203], v[36:37], v[202:203]              // 00000000628C: D3B140CA 18039524
	v_mfma_f32_32x32x64_f8f6f4 v[60:75], a[136:143], a[64:71], v[60:75]// 000000006294: D3AE003C 1CF28188
	ds_read_b64_tr_b8 a[120:121], v17 offset:3072              // 00000000629C: DBC40C00 78000011
	ds_read_b64_tr_b8 a[122:123], v18 offset:3072              // 0000000062A4: DBC40C00 7A000012
	ds_read_b64_tr_b8 a[124:125], v17 offset:21504             // 0000000062AC: DBC45400 7C000011
	ds_read_b64_tr_b8 a[126:127], v18 offset:21504             // 0000000062B4: DBC45400 7E000012
	ds_read_b64_tr_b8 a[128:129], v19 offset:3072              // 0000000062BC: DBC40C00 80000013
	ds_read_b64_tr_b8 a[130:131], v20 offset:3072              // 0000000062C4: DBC40C00 82000014
	ds_read_b64_tr_b8 a[132:133], v19 offset:21504             // 0000000062CC: DBC45400 84000013
	ds_read_b64_tr_b8 a[134:135], v20 offset:21504             // 0000000062D4: DBC45400 86000014
	buffer_load_dwordx4 v217, s[20:23], 0 offen offset:512 lds // 0000000062DC: E05D1200 800500D9
	s_add_i32 m0, m0, 0x3c0                                    // 0000000062E4: 817CFF7C 000003C0
	s_addk_i32 s70, 0x1                                        // 0000000062EC: B7460001
	s_cmp_lt_i32 s70, s71                                      // 0000000062F0: BF044746
	s_cbranch_scc0 label_3184                                  // 0000000062F4: BF84FC63
	v_mul_u32_u24_e64 v217, v32, s68                           // 0000000062F8: D10800D9 00008920
	v_add_u32_e32 v217, v217, v1                               // 000000006300: 69B203D9
	s_waitcnt vmcnt(10)                                        // 000000006304: BF8C0F7A
	s_barrier                                                  // 000000006308: BF8A0000
	s_waitcnt lgkmcnt(8)                                       // 00000000630C: BF8CC87F
	v_mfma_f32_32x32x64_f8f6f4 v[76:91], a[72:79], v[44:51], v[76:91]// 000000006310: D3AE004C 0D325948
	v_mov_b32_e32 v213, v60                                    // 000000006318: 7FAA033C
	v_max3_f32 v213, v60, v61, v213                            // 00000000631C: D1D300D5 07567B3C
	v_max3_f32 v213, v62, v63, v213                            // 000000006324: D1D300D5 07567F3E
	v_max3_f32 v213, v64, v65, v213                            // 00000000632C: D1D300D5 07568340
	v_max3_f32 v213, v66, v67, v213                            // 000000006334: D1D300D5 07568742
	v_max3_f32 v213, v68, v69, v213                            // 00000000633C: D1D300D5 07568B44
	v_max3_f32 v213, v70, v71, v213                            // 000000006344: D1D300D5 07568F46
	v_max3_f32 v213, v72, v73, v213                            // 00000000634C: D1D300D5 07569348
	v_max3_f32 v213, v74, v75, v213                            // 000000006354: D1D300D5 0756974A
	v_mov_b32_e32 v35, v213                                    // 00000000635C: 7E4603D5
	v_mov_b32_e32 v36, v213                                    // 000000006360: 7E4803D5
	s_nop 0                                                    // 000000006364: BF800000
	ds_read_b128 a[72:75], v24                                 // 000000006368: DBFE0000 48000018
	ds_read_b128 a[76:79], v25                                 // 000000006370: DBFE0000 4C000019
	v_mfma_f32_32x32x64_f8f6f4 v[92:107], a[80:87], v[44:51], v[92:107]// 000000006378: D3AE005C 0D725950
	v_permlane32_swap_b32_e32 v35, v36                         // 000000006380: 7E46B524
	v_max3_f32 v213, v35, v36, v213                            // 000000006384: D1D300D5 07564923
	ds_write_b32 v41, v213                                     // 00000000638C: D81A0000 0000D529
	s_mov_b32 s56, 0x1d000                                     // 000000006394: BEB800FF 0001D000
	s_mul_i32 s57, s7, 0x2400                                  // 00000000639C: 9239FF07 00002400
	s_add_u32 m0, s56, s57                                     // 0000000063A4: 807C3938
	buffer_load_dwordx4 v217, s[20:23], 0 offen lds            // 0000000063A8: E05D1000 800500D9
	s_add_i32 m0, m0, 0x3c0                                    // 0000000063B0: 817CFF7C 000003C0
	buffer_load_dwordx4 v217, s[20:23], 0 offen offset:64 lds  // 0000000063B8: E05D1040 800500D9
	s_add_i32 m0, m0, 0x3c0                                    // 0000000063C0: 817CFF7C 000003C0
	s_waitcnt lgkmcnt(0)                                       // 0000000063C8: BF8CC07F
	s_barrier                                                  // 0000000063CC: BF8A0000
	v_mfma_f32_32x32x64_f8f6f4 v[108:123], a[88:95], v[44:51], v[108:123]// 0000000063D0: D3AE006C 0DB25958
	ds_read_b32 v35, v40                                       // 0000000063D8: D86C0000 23000028
	ds_read_b32 v36, v40 offset:256                            // 0000000063E0: D86C0100 24000028
	s_waitcnt lgkmcnt(0)                                       // 0000000063E8: BF8CC07F
	v_max3_f32 v213, v35, v36, v213                            // 0000000063EC: D1D300D5 07564923
	v_mov_b32_e32 v35, 0xff800000                              // 0000000063F4: 7E4602FF FF800000
	v_cmp_eq_u32_e64 s[36:37], v35, v2                         // 0000000063FC: D0CA0024 00020523
	v_max_f32_e32 v216, v213, v2                               // 000000006404: 17B005D5
	v_sub_f32_e32 v21, v2, v216                                // 000000006408: 042BB102
	v_cndmask_b32_e64 v21, v21, 0, s[36:37]                    // 00000000640C: D1000015 00910115
	v_mfma_f32_32x32x64_f8f6f4 v[124:139], a[96:103], v[44:51], v[124:139]// 000000006414: D3AE007C 0DF25960
	ds_read_b128 a[80:83], v24 offset:1024                     // 00000000641C: DBFE0400 50000018
	ds_read_b128 a[84:87], v25 offset:1024                     // 000000006424: DBFE0400 54000019
	ds_read_b128 a[88:91], v24 offset:2048                     // 00000000642C: DBFE0800 58000018
	ds_read_b128 a[92:95], v25 offset:2048                     // 000000006434: DBFE0800 5C000019
	ds_read_b128 a[96:99], v24 offset:3072                     // 00000000643C: DBFE0C00 60000018
	ds_read_b128 a[100:103], v25 offset:3072                   // 000000006444: DBFE0C00 64000019
	v_mov_b32_e32 v2, v216                                     // 00000000644C: 7E0403D8
	v_mul_f32_e32 v212, s5, v216                               // 000000006450: 0BA9B005
	v_mul_f32_e32 v21, s5, v21                                 // 000000006454: 0A2A2A05
	v_exp_f32_e32 v21, v21                                     // 000000006458: 7E2A4115
	v_fma_f32 v60, v60, s5, -v212                              // 00000000645C: D1CB003C 87500B3C
	v_fma_f32 v61, v61, s5, -v212                              // 000000006464: D1CB003D 87500B3D
	v_fma_f32 v62, v62, s5, -v212                              // 00000000646C: D1CB003E 87500B3E
	v_fma_f32 v63, v63, s5, -v212                              // 000000006474: D1CB003F 87500B3F
	v_fma_f32 v64, v64, s5, -v212                              // 00000000647C: D1CB0040 87500B40
	v_mfma_f32_32x32x64_f8f6f4 v[140:155], a[104:111], v[44:51], v[140:155]// 000000006484: D3AE008C 0E325968
	buffer_load_dwordx4 v217, s[20:23], 0 offen offset:128 lds // 00000000648C: E05D1080 800500D9
	s_add_i32 m0, m0, 0x3c0                                    // 000000006494: 817CFF7C 000003C0
	v_fma_f32 v65, v65, s5, -v212                              // 00000000649C: D1CB0041 87500B41
	v_fma_f32 v66, v66, s5, -v212                              // 0000000064A4: D1CB0042 87500B42
	v_fma_f32 v67, v67, s5, -v212                              // 0000000064AC: D1CB0043 87500B43
	v_fma_f32 v68, v68, s5, -v212                              // 0000000064B4: D1CB0044 87500B44
	v_fma_f32 v69, v69, s5, -v212                              // 0000000064BC: D1CB0045 87500B45
	v_fma_f32 v70, v70, s5, -v212                              // 0000000064C4: D1CB0046 87500B46
	v_fma_f32 v71, v71, s5, -v212                              // 0000000064CC: D1CB0047 87500B47
	v_fma_f32 v72, v72, s5, -v212                              // 0000000064D4: D1CB0048 87500B48
	v_fma_f32 v73, v73, s5, -v212                              // 0000000064DC: D1CB0049 87500B49
	v_fma_f32 v74, v74, s5, -v212                              // 0000000064E4: D1CB004A 87500B4A
	v_fma_f32 v75, v75, s5, -v212                              // 0000000064EC: D1CB004B 87500B4B
	v_exp_f32_e32 v60, v60                                     // 0000000064F4: 7E78413C
	v_exp_f32_e32 v61, v61                                     // 0000000064F8: 7E7A413D
	v_mfma_f32_32x32x64_f8f6f4 v[156:171], a[112:119], v[44:51], v[156:171]// 0000000064FC: D3AE009C 0E725970
	ds_read_b128 a[104:107], v24 offset:4096                   // 000000006504: DBFE1000 68000018
	ds_read_b128 a[108:111], v25 offset:4096                   // 00000000650C: DBFE1000 6C000019
	ds_read_b128 a[112:115], v24 offset:5120                   // 000000006514: DBFE1400 70000018
	ds_read_b128 a[116:119], v25 offset:5120                   // 00000000651C: DBFE1400 74000019
	ds_read_b128 a[120:123], v24 offset:6144                   // 000000006524: DBFE1800 78000018
	ds_read_b128 a[124:127], v25 offset:6144                   // 00000000652C: DBFE1800 7C000019
	v_exp_f32_e32 v62, v62                                     // 000000006534: 7E7C413E
	v_exp_f32_e32 v63, v63                                     // 000000006538: 7E7E413F
	v_exp_f32_e32 v64, v64                                     // 00000000653C: 7E804140
	v_exp_f32_e32 v65, v65                                     // 000000006540: 7E824141
	v_exp_f32_e32 v66, v66                                     // 000000006544: 7E844142
	v_mfma_f32_32x32x64_f8f6f4 v[172:187], a[120:127], v[44:51], v[172:187]// 000000006548: D3AE00AC 0EB25978
	buffer_load_dwordx4 v217, s[20:23], 0 offen offset:192 lds // 000000006550: E05D10C0 800500D9
	s_add_i32 m0, m0, 0x3c0                                    // 000000006558: 817CFF7C 000003C0
	v_exp_f32_e32 v67, v67                                     // 000000006560: 7E864143
	v_exp_f32_e32 v68, v68                                     // 000000006564: 7E884144
	v_exp_f32_e32 v69, v69                                     // 000000006568: 7E8A4145
	v_exp_f32_e32 v70, v70                                     // 00000000656C: 7E8C4146
	v_exp_f32_e32 v71, v71                                     // 000000006570: 7E8E4147
	v_exp_f32_e32 v72, v72                                     // 000000006574: 7E904148
	v_exp_f32_e32 v73, v73                                     // 000000006578: 7E924149
	v_mfma_f32_32x32x64_f8f6f4 v[188:203], a[128:135], v[44:51], v[188:203]// 00000000657C: D3AE00BC 0EF25980
	v_exp_f32_e32 v74, v74                                     // 000000006584: 7E94414A
	v_exp_f32_e32 v75, v75                                     // 000000006588: 7E96414B
	v_mul_f32_e32 v4, v21, v4                                  // 00000000658C: 0A080915
	v_mov_b32_e32 v35, v60                                     // 000000006590: 7E46033C
	v_add_f32_e32 v35, v61, v35                                // 000000006594: 0246473D
	v_add_f32_e32 v35, v62, v35                                // 000000006598: 0246473E
	v_add_f32_e32 v35, v63, v35                                // 00000000659C: 0246473F
	v_add_f32_e32 v35, v64, v35                                // 0000000065A0: 02464740
	ds_read_b128 a[128:131], v24 offset:7168                   // 0000000065A4: DBFE1C00 80000018
	ds_read_b128 a[132:135], v25 offset:7168                   // 0000000065AC: DBFE1C00 84000019
	ds_read_b128 a[136:139], v24 offset:8192                   // 0000000065B4: DBFE2000 88000018
	ds_read_b128 a[140:143], v25 offset:8192                   // 0000000065BC: DBFE2000 8C000019
	v_add_f32_e32 v35, v65, v35                                // 0000000065C4: 02464741
	v_add_f32_e32 v35, v66, v35                                // 0000000065C8: 02464742
	v_add_f32_e32 v35, v67, v35                                // 0000000065CC: 02464743
	v_add_f32_e32 v35, v68, v35                                // 0000000065D0: 02464744
	v_add_f32_e32 v35, v69, v35                                // 0000000065D4: 02464745
	v_add_f32_e32 v35, v70, v35                                // 0000000065D8: 02464746
	v_add_f32_e32 v35, v71, v35                                // 0000000065DC: 02464747
	v_add_f32_e32 v35, v72, v35                                // 0000000065E0: 02464748
	v_add_f32_e32 v35, v73, v35                                // 0000000065E4: 02464749
	v_add_f32_e32 v35, v74, v35                                // 0000000065E8: 0246474A
	v_add_f32_e32 v35, v75, v35                                // 0000000065EC: 0246474B
	v_add_f32_e32 v4, v35, v4                                  // 0000000065F0: 02080923
	v_cvt_pk_fp8_f32 v60, v60, v61                             // 0000000065F4: D2A2003C 00027B3C
	v_cvt_pk_fp8_f32 v60, v62, v63 op_sel:[0,0,1]              // 0000000065FC: D2A2403C 00027F3E
	v_cvt_pk_fp8_f32 v61, v64, v65                             // 000000006604: D2A2003D 00028340
	v_cvt_pk_fp8_f32 v61, v66, v67 op_sel:[0,0,1]              // 00000000660C: D2A2403D 00028742
	v_cvt_pk_fp8_f32 v62, v68, v69                             // 000000006614: D2A2003E 00028B44
	v_cvt_pk_fp8_f32 v62, v70, v71 op_sel:[0,0,1]              // 00000000661C: D2A2403E 00028F46
	v_cvt_pk_fp8_f32 v63, v72, v73                             // 000000006624: D2A2003F 00029348
	v_cvt_pk_fp8_f32 v63, v74, v75 op_sel:[0,0,1]              // 00000000662C: D2A2403F 0002974A
	s_waitcnt lgkmcnt(8)                                       // 000000006634: BF8CC87F
	v_mfma_f32_32x32x64_f8f6f4 v[44:59], a[72:79], a[0:7], 0   // 000000006638: D3AE002C 1A020148
	ds_write_b128 v43, v[60:63] offset:1024                    // 000000006640: D9BE0400 00003C2B
	v_mul_f32_e32 v76, v21, v76                                // 000000006648: 0A989915
	v_mul_f32_e32 v77, v21, v77                                // 00000000664C: 0A9A9B15
	v_mul_f32_e32 v78, v21, v78                                // 000000006650: 0A9C9D15
	v_mul_f32_e32 v79, v21, v79                                // 000000006654: 0A9E9F15
	v_mul_f32_e32 v80, v21, v80                                // 000000006658: 0AA0A115
	v_mul_f32_e32 v81, v21, v81                                // 00000000665C: 0AA2A315
	v_mul_f32_e32 v82, v21, v82                                // 000000006660: 0AA4A515
	v_mul_f32_e32 v83, v21, v83                                // 000000006664: 0AA6A715
	v_mul_f32_e32 v84, v21, v84                                // 000000006668: 0AA8A915
	v_mul_f32_e32 v85, v21, v85                                // 00000000666C: 0AAAAB15
	v_mul_f32_e32 v86, v21, v86                                // 000000006670: 0AACAD15
	v_mul_f32_e32 v87, v21, v87                                // 000000006674: 0AAEAF15
	v_mul_f32_e32 v88, v21, v88                                // 000000006678: 0AB0B115
	v_mul_f32_e32 v89, v21, v89                                // 00000000667C: 0AB2B315
	v_mfma_f32_32x32x64_f8f6f4 v[44:59], a[80:87], a[8:15], v[44:59]// 000000006680: D3AE002C 1CB21150
	buffer_load_dword v30, v34, s[24:27], 0 offen              // 000000006688: E0501000 80061E22
	buffer_load_dwordx4 v217, s[20:23], 0 offen offset:256 lds // 000000006690: E05D1100 800500D9
	s_add_i32 m0, m0, 0x3c0                                    // 000000006698: 817CFF7C 000003C0
	v_mul_f32_e32 v90, v21, v90                                // 0000000066A0: 0AB4B515
	v_mul_f32_e32 v91, v21, v91                                // 0000000066A4: 0AB6B715
	v_mul_f32_e32 v92, v21, v92                                // 0000000066A8: 0AB8B915
	v_mul_f32_e32 v93, v21, v93                                // 0000000066AC: 0ABABB15
	v_mul_f32_e32 v94, v21, v94                                // 0000000066B0: 0ABCBD15
	v_mul_f32_e32 v95, v21, v95                                // 0000000066B4: 0ABEBF15
	v_mov_b32_e32 v36, v21                                     // 0000000066B8: 7E480315
	v_mov_b32_e32 v37, v21                                     // 0000000066BC: 7E4A0315
	v_pk_mul_f32 v[140:141], v[36:37], v[140:141]              // 0000000066C0: D3B1408C 18031924
	v_pk_mul_f32 v[142:143], v[36:37], v[142:143]              // 0000000066C8: D3B1408E 18031D24
	s_waitcnt lgkmcnt(0)                                       // 0000000066D0: BF8CC07F
	s_barrier                                                  // 0000000066D4: BF8A0000
	v_mfma_f32_32x32x64_f8f6f4 v[44:59], a[88:95], a[16:23], v[44:59]// 0000000066D8: D3AE002C 1CB22158
	ds_read_b128 v[60:63], v42 offset:1024                     // 0000000066E0: D9FE0400 3C00002A
	ds_read_b128 v[64:67], v42 offset:2048                     // 0000000066E8: D9FE0800 4000002A
	ds_read_b64_tr_b8 a[72:73], v5                             // 0000000066F0: DBC40000 48000005
	ds_read_b64_tr_b8 a[74:75], v6                             // 0000000066F8: DBC40000 4A000006
	ds_read_b64_tr_b8 a[76:77], v5 offset:18432                // 000000006700: DBC44800 4C000005
	ds_read_b64_tr_b8 a[78:79], v6 offset:18432                // 000000006708: DBC44800 4E000006
	ds_read_b64_tr_b8 a[80:81], v7                             // 000000006710: DBC40000 50000007
	ds_read_b64_tr_b8 a[82:83], v8                             // 000000006718: DBC40000 52000008
	ds_read_b64_tr_b8 a[84:85], v7 offset:18432                // 000000006720: DBC44800 54000007
	ds_read_b64_tr_b8 a[86:87], v8 offset:18432                // 000000006728: DBC44800 56000008
	v_mul_f32_e32 v96, v21, v96                                // 000000006730: 0AC0C115
	v_mul_f32_e32 v97, v21, v97                                // 000000006734: 0AC2C315
	v_mul_f32_e32 v98, v21, v98                                // 000000006738: 0AC4C515
	v_mul_f32_e32 v99, v21, v99                                // 00000000673C: 0AC6C715
	v_mul_f32_e32 v100, v21, v100                              // 000000006740: 0AC8C915
	v_mul_f32_e32 v101, v21, v101                              // 000000006744: 0ACACB15
	v_mul_f32_e32 v102, v21, v102                              // 000000006748: 0ACCCD15
	v_mul_f32_e32 v103, v21, v103                              // 00000000674C: 0ACECF15
	v_mul_f32_e32 v104, v21, v104                              // 000000006750: 0AD0D115
	v_mul_f32_e32 v105, v21, v105                              // 000000006754: 0AD2D315
	v_mul_f32_e32 v106, v21, v106                              // 000000006758: 0AD4D515
	v_mul_f32_e32 v107, v21, v107                              // 00000000675C: 0AD6D715
	v_add_u32_e32 v34, s73, v34                                // 000000006760: 68444449
	v_mfma_f32_32x32x64_f8f6f4 v[44:59], a[96:103], a[24:31], v[44:59]// 000000006764: D3AE002C 1CB23160
	buffer_load_dwordx4 v217, s[20:23], 0 offen offset:320 lds // 00000000676C: E05D1140 800500D9
	s_add_i32 m0, m0, 0x3c0                                    // 000000006774: 817CFF7C 000003C0
	v_mul_f32_e32 v108, v21, v108                              // 00000000677C: 0AD8D915
	v_mul_f32_e32 v109, v21, v109                              // 000000006780: 0ADADB15
	v_mul_f32_e32 v110, v21, v110                              // 000000006784: 0ADCDD15
	v_mul_f32_e32 v111, v21, v111                              // 000000006788: 0ADEDF15
	v_mul_f32_e32 v112, v21, v112                              // 00000000678C: 0AE0E115
	v_mul_f32_e32 v113, v21, v113                              // 000000006790: 0AE2E315
	v_mul_f32_e32 v114, v21, v114                              // 000000006794: 0AE4E515
	v_mul_f32_e32 v115, v21, v115                              // 000000006798: 0AE6E715
	v_mul_f32_e32 v116, v21, v116                              // 00000000679C: 0AE8E915
	v_mul_f32_e32 v117, v21, v117                              // 0000000067A0: 0AEAEB15
	v_mul_f32_e32 v118, v21, v118                              // 0000000067A4: 0AECED15
	v_mul_f32_e32 v119, v21, v119                              // 0000000067A8: 0AEEEF15
	v_mfma_f32_32x32x64_f8f6f4 v[44:59], a[104:111], a[32:39], v[44:59]// 0000000067AC: D3AE002C 1CB24168
	ds_read_b64_tr_b8 a[88:89], v5 offset:1024                 // 0000000067B4: DBC40400 58000005
	ds_read_b64_tr_b8 a[90:91], v6 offset:1024                 // 0000000067BC: DBC40400 5A000006
	ds_read_b64_tr_b8 a[92:93], v5 offset:19456                // 0000000067C4: DBC44C00 5C000005
	ds_read_b64_tr_b8 a[94:95], v6 offset:19456                // 0000000067CC: DBC44C00 5E000006
	ds_read_b64_tr_b8 a[96:97], v7 offset:1024                 // 0000000067D4: DBC40400 60000007
	ds_read_b64_tr_b8 a[98:99], v8 offset:1024                 // 0000000067DC: DBC40400 62000008
	ds_read_b64_tr_b8 a[100:101], v7 offset:19456              // 0000000067E4: DBC44C00 64000007
	ds_read_b64_tr_b8 a[102:103], v8 offset:19456              // 0000000067EC: DBC44C00 66000008
	v_mul_f32_e32 v120, v21, v120                              // 0000000067F4: 0AF0F115
	v_mul_f32_e32 v121, v21, v121                              // 0000000067F8: 0AF2F315
	v_mul_f32_e32 v122, v21, v122                              // 0000000067FC: 0AF4F515
	v_mul_f32_e32 v123, v21, v123                              // 000000006800: 0AF6F715
	v_mul_f32_e32 v124, v21, v124                              // 000000006804: 0AF8F915
	v_mul_f32_e32 v125, v21, v125                              // 000000006808: 0AFAFB15
	v_mul_f32_e32 v126, v21, v126                              // 00000000680C: 0AFCFD15
	v_mul_f32_e32 v127, v21, v127                              // 000000006810: 0AFEFF15
	v_mul_f32_e32 v128, v21, v128                              // 000000006814: 0B010115
	v_mul_f32_e32 v129, v21, v129                              // 000000006818: 0B030315
	v_mul_f32_e32 v130, v21, v130                              // 00000000681C: 0B050515
	v_mul_f32_e32 v131, v21, v131                              // 000000006820: 0B070715
	v_mfma_f32_32x32x64_f8f6f4 v[44:59], a[112:119], a[40:47], v[44:59]// 000000006824: D3AE002C 1CB25170
	s_waitcnt lgkmcnt(0)                                       // 00000000682C: BF8CC07F
	buffer_load_dwordx4 v217, s[20:23], 0 offen offset:384 lds // 000000006830: E05D1180 800500D9
	s_add_i32 m0, m0, 0x3c0                                    // 000000006838: 817CFF7C 000003C0
	v_mul_f32_e32 v132, v21, v132                              // 000000006840: 0B090915
	v_mul_f32_e32 v133, v21, v133                              // 000000006844: 0B0B0B15
	v_mul_f32_e32 v134, v21, v134                              // 000000006848: 0B0D0D15
	v_mul_f32_e32 v135, v21, v135                              // 00000000684C: 0B0F0F15
	v_mul_f32_e32 v136, v21, v136                              // 000000006850: 0B111115
	v_mul_f32_e32 v137, v21, v137                              // 000000006854: 0B131315
	v_mul_f32_e32 v138, v21, v138                              // 000000006858: 0B151515
	v_mul_f32_e32 v139, v21, v139                              // 00000000685C: 0B171715
	v_mfma_f32_32x32x64_f8f6f4 v[44:59], a[120:127], a[48:55], v[44:59]// 000000006860: D3AE002C 1CB26178
	ds_read_b64_tr_b8 a[104:105], v5 offset:2048               // 000000006868: DBC40800 68000005
	ds_read_b64_tr_b8 a[106:107], v6 offset:2048               // 000000006870: DBC40800 6A000006
	ds_read_b64_tr_b8 a[108:109], v5 offset:20480              // 000000006878: DBC45000 6C000005
	ds_read_b64_tr_b8 a[110:111], v6 offset:20480              // 000000006880: DBC45000 6E000006
	ds_read_b64_tr_b8 a[112:113], v7 offset:2048               // 000000006888: DBC40800 70000007
	ds_read_b64_tr_b8 a[114:115], v8 offset:2048               // 000000006890: DBC40800 72000008
	ds_read_b64_tr_b8 a[116:117], v7 offset:20480              // 000000006898: DBC45000 74000007
	ds_read_b64_tr_b8 a[118:119], v8 offset:20480              // 0000000068A0: DBC45000 76000008
	v_permlane32_swap_b32_e32 v60, v62                         // 0000000068A8: 7E78B53E
	v_permlane32_swap_b32_e32 v61, v63                         // 0000000068AC: 7E7AB53F
	v_swap_b32 v61, v62                                        // 0000000068B0: 7E7AA33E
	v_permlane32_swap_b32_e32 v64, v66                         // 0000000068B4: 7E80B542
	v_permlane32_swap_b32_e32 v65, v67                         // 0000000068B8: 7E82B543
	v_swap_b32 v65, v66                                        // 0000000068BC: 7E82A342
	v_mfma_f32_32x32x64_f8f6f4 v[44:59], a[128:135], a[56:63], v[44:59]// 0000000068C0: D3AE002C 1CB27180
	buffer_load_dwordx4 v217, s[20:23], 0 offen offset:448 lds // 0000000068C8: E05D11C0 800500D9
	s_add_i32 m0, m0, 0x3c0                                    // 0000000068D0: 817CFF7C 000003C0
	v_pk_mul_f32 v[144:145], v[36:37], v[144:145]              // 0000000068D8: D3B14090 18032124
	v_pk_mul_f32 v[146:147], v[36:37], v[146:147]              // 0000000068E0: D3B14092 18032524
	v_pk_mul_f32 v[148:149], v[36:37], v[148:149]              // 0000000068E8: D3B14094 18032924
	v_pk_mul_f32 v[150:151], v[36:37], v[150:151]              // 0000000068F0: D3B14096 18032D24
	v_pk_mul_f32 v[152:153], v[36:37], v[152:153]              // 0000000068F8: D3B14098 18033124
	v_pk_mul_f32 v[154:155], v[36:37], v[154:155]              // 000000006900: D3B1409A 18033524
	v_pk_mul_f32 v[156:157], v[36:37], v[156:157]              // 000000006908: D3B1409C 18033924
	v_pk_mul_f32 v[158:159], v[36:37], v[158:159]              // 000000006910: D3B1409E 18033D24
	v_pk_mul_f32 v[160:161], v[36:37], v[160:161]              // 000000006918: D3B140A0 18034124
	v_pk_mul_f32 v[162:163], v[36:37], v[162:163]              // 000000006920: D3B140A2 18034524
	v_pk_mul_f32 v[164:165], v[36:37], v[164:165]              // 000000006928: D3B140A4 18034924
	v_pk_mul_f32 v[166:167], v[36:37], v[166:167]              // 000000006930: D3B140A6 18034D24
	v_pk_mul_f32 v[168:169], v[36:37], v[168:169]              // 000000006938: D3B140A8 18035124
	v_pk_mul_f32 v[170:171], v[36:37], v[170:171]              // 000000006940: D3B140AA 18035524
	v_pk_mul_f32 v[172:173], v[36:37], v[172:173]              // 000000006948: D3B140AC 18035924
	v_pk_mul_f32 v[174:175], v[36:37], v[174:175]              // 000000006950: D3B140AE 18035D24
	v_pk_mul_f32 v[176:177], v[36:37], v[176:177]              // 000000006958: D3B140B0 18036124
	v_pk_mul_f32 v[178:179], v[36:37], v[178:179]              // 000000006960: D3B140B2 18036524
	v_pk_mul_f32 v[180:181], v[36:37], v[180:181]              // 000000006968: D3B140B4 18036924
	v_pk_mul_f32 v[182:183], v[36:37], v[182:183]              // 000000006970: D3B140B6 18036D24
	v_pk_mul_f32 v[184:185], v[36:37], v[184:185]              // 000000006978: D3B140B8 18037124
	v_pk_mul_f32 v[186:187], v[36:37], v[186:187]              // 000000006980: D3B140BA 18037524
	v_pk_mul_f32 v[188:189], v[36:37], v[188:189]              // 000000006988: D3B140BC 18037924
	v_pk_mul_f32 v[190:191], v[36:37], v[190:191]              // 000000006990: D3B140BE 18037D24
	v_pk_mul_f32 v[192:193], v[36:37], v[192:193]              // 000000006998: D3B140C0 18038124
	v_pk_mul_f32 v[194:195], v[36:37], v[194:195]              // 0000000069A0: D3B140C2 18038524
	v_pk_mul_f32 v[196:197], v[36:37], v[196:197]              // 0000000069A8: D3B140C4 18038924
	v_pk_mul_f32 v[198:199], v[36:37], v[198:199]              // 0000000069B0: D3B140C6 18038D24
	v_pk_mul_f32 v[200:201], v[36:37], v[200:201]              // 0000000069B8: D3B140C8 18039124
	v_pk_mul_f32 v[202:203], v[36:37], v[202:203]              // 0000000069C0: D3B140CA 18039524
	v_mfma_f32_32x32x64_f8f6f4 v[44:59], a[136:143], a[64:71], v[44:59]// 0000000069C8: D3AE002C 1CB28188
	ds_read_b64_tr_b8 a[120:121], v5 offset:3072               // 0000000069D0: DBC40C00 78000005
	ds_read_b64_tr_b8 a[122:123], v6 offset:3072               // 0000000069D8: DBC40C00 7A000006
	ds_read_b64_tr_b8 a[124:125], v5 offset:21504              // 0000000069E0: DBC45400 7C000005
	ds_read_b64_tr_b8 a[126:127], v6 offset:21504              // 0000000069E8: DBC45400 7E000006
	ds_read_b64_tr_b8 a[128:129], v7 offset:3072               // 0000000069F0: DBC40C00 80000007
	ds_read_b64_tr_b8 a[130:131], v8 offset:3072               // 0000000069F8: DBC40C00 82000008
	ds_read_b64_tr_b8 a[132:133], v7 offset:21504              // 000000006A00: DBC45400 84000007
	ds_read_b64_tr_b8 a[134:135], v8 offset:21504              // 000000006A08: DBC45400 86000008
	buffer_load_dwordx4 v217, s[20:23], 0 offen offset:512 lds // 000000006A10: E05D1200 800500D9
	s_add_i32 m0, m0, 0x3c0                                    // 000000006A18: 817CFF7C 000003C0
	s_addk_i32 s70, 0x1                                        // 000000006A20: B7460001
	s_cmp_lt_i32 s70, s71                                      // 000000006A24: BF044746
	s_cbranch_scc0 label_3184                                  // 000000006A28: BF84FA96
	v_mul_u32_u24_e64 v217, v33, s68                           // 000000006A2C: D10800D9 00008921
	v_add_u32_e32 v217, v217, v1                               // 000000006A34: 69B203D9
	s_waitcnt vmcnt(10)                                        // 000000006A38: BF8C0F7A
	s_barrier                                                  // 000000006A3C: BF8A0000
	s_waitcnt lgkmcnt(8)                                       // 000000006A40: BF8CC87F
	v_mfma_f32_32x32x64_f8f6f4 v[76:91], a[72:79], v[60:67], v[76:91]// 000000006A44: D3AE004C 0D327948
	v_mov_b32_e32 v213, v44                                    // 000000006A4C: 7FAA032C
	v_max3_f32 v213, v44, v45, v213                            // 000000006A50: D1D300D5 07565B2C
	v_max3_f32 v213, v46, v47, v213                            // 000000006A58: D1D300D5 07565F2E
	v_max3_f32 v213, v48, v49, v213                            // 000000006A60: D1D300D5 07566330
	v_max3_f32 v213, v50, v51, v213                            // 000000006A68: D1D300D5 07566732
	v_max3_f32 v213, v52, v53, v213                            // 000000006A70: D1D300D5 07566B34
	v_max3_f32 v213, v54, v55, v213                            // 000000006A78: D1D300D5 07566F36
	v_max3_f32 v213, v56, v57, v213                            // 000000006A80: D1D300D5 07567338
	v_max3_f32 v213, v58, v59, v213                            // 000000006A88: D1D300D5 0756773A
	v_mov_b32_e32 v35, v213                                    // 000000006A90: 7E4603D5
	v_mov_b32_e32 v36, v213                                    // 000000006A94: 7E4803D5
	s_nop 0                                                    // 000000006A98: BF800000
	ds_read_b128 a[72:75], v26                                 // 000000006A9C: DBFE0000 4800001A
	ds_read_b128 a[76:79], v27                                 // 000000006AA4: DBFE0000 4C00001B
	v_mfma_f32_32x32x64_f8f6f4 v[92:107], a[80:87], v[60:67], v[92:107]// 000000006AAC: D3AE005C 0D727950
	v_permlane32_swap_b32_e32 v35, v36                         // 000000006AB4: 7E46B524
	v_max3_f32 v213, v35, v36, v213                            // 000000006AB8: D1D300D5 07564923
	ds_write_b32 v41, v213                                     // 000000006AC0: D81A0000 0000D529
	s_mov_b32 s56, 0x2000                                      // 000000006AC8: BEB800FF 00002000
	s_mul_i32 s57, s7, 0x2400                                  // 000000006AD0: 9239FF07 00002400
	s_add_u32 m0, s56, s57                                     // 000000006AD8: 807C3938
	buffer_load_dwordx4 v217, s[20:23], 0 offen lds            // 000000006ADC: E05D1000 800500D9
	s_add_i32 m0, m0, 0x3c0                                    // 000000006AE4: 817CFF7C 000003C0
	buffer_load_dwordx4 v217, s[20:23], 0 offen offset:64 lds  // 000000006AEC: E05D1040 800500D9
	s_add_i32 m0, m0, 0x3c0                                    // 000000006AF4: 817CFF7C 000003C0
	s_waitcnt lgkmcnt(0)                                       // 000000006AFC: BF8CC07F
	s_barrier                                                  // 000000006B00: BF8A0000
	v_mfma_f32_32x32x64_f8f6f4 v[108:123], a[88:95], v[60:67], v[108:123]// 000000006B04: D3AE006C 0DB27958
	ds_read_b32 v35, v40                                       // 000000006B0C: D86C0000 23000028
	ds_read_b32 v36, v40 offset:256                            // 000000006B14: D86C0100 24000028
	s_waitcnt lgkmcnt(0)                                       // 000000006B1C: BF8CC07F
	v_max3_f32 v213, v35, v36, v213                            // 000000006B20: D1D300D5 07564923
	v_mov_b32_e32 v35, 0xff800000                              // 000000006B28: 7E4602FF FF800000
	v_cmp_eq_u32_e64 s[36:37], v35, v2                         // 000000006B30: D0CA0024 00020523
	v_max_f32_e32 v216, v213, v2                               // 000000006B38: 17B005D5
	v_sub_f32_e32 v21, v2, v216                                // 000000006B3C: 042BB102
	v_cndmask_b32_e64 v21, v21, 0, s[36:37]                    // 000000006B40: D1000015 00910115
	v_mfma_f32_32x32x64_f8f6f4 v[124:139], a[96:103], v[60:67], v[124:139]// 000000006B48: D3AE007C 0DF27960
	ds_read_b128 a[80:83], v26 offset:1024                     // 000000006B50: DBFE0400 5000001A
	ds_read_b128 a[84:87], v27 offset:1024                     // 000000006B58: DBFE0400 5400001B
	ds_read_b128 a[88:91], v26 offset:2048                     // 000000006B60: DBFE0800 5800001A
	ds_read_b128 a[92:95], v27 offset:2048                     // 000000006B68: DBFE0800 5C00001B
	ds_read_b128 a[96:99], v26 offset:3072                     // 000000006B70: DBFE0C00 6000001A
	ds_read_b128 a[100:103], v27 offset:3072                   // 000000006B78: DBFE0C00 6400001B
	v_mov_b32_e32 v2, v216                                     // 000000006B80: 7E0403D8
	v_mul_f32_e32 v212, s5, v216                               // 000000006B84: 0BA9B005
	v_mul_f32_e32 v21, s5, v21                                 // 000000006B88: 0A2A2A05
	v_exp_f32_e32 v21, v21                                     // 000000006B8C: 7E2A4115
	v_fma_f32 v44, v44, s5, -v212                              // 000000006B90: D1CB002C 87500B2C
	v_fma_f32 v45, v45, s5, -v212                              // 000000006B98: D1CB002D 87500B2D
	v_fma_f32 v46, v46, s5, -v212                              // 000000006BA0: D1CB002E 87500B2E
	v_fma_f32 v47, v47, s5, -v212                              // 000000006BA8: D1CB002F 87500B2F
	v_fma_f32 v48, v48, s5, -v212                              // 000000006BB0: D1CB0030 87500B30
	v_mfma_f32_32x32x64_f8f6f4 v[140:155], a[104:111], v[60:67], v[140:155]// 000000006BB8: D3AE008C 0E327968
	buffer_load_dwordx4 v217, s[20:23], 0 offen offset:128 lds // 000000006BC0: E05D1080 800500D9
	s_add_i32 m0, m0, 0x3c0                                    // 000000006BC8: 817CFF7C 000003C0
	v_fma_f32 v49, v49, s5, -v212                              // 000000006BD0: D1CB0031 87500B31
	v_fma_f32 v50, v50, s5, -v212                              // 000000006BD8: D1CB0032 87500B32
	v_fma_f32 v51, v51, s5, -v212                              // 000000006BE0: D1CB0033 87500B33
	v_fma_f32 v52, v52, s5, -v212                              // 000000006BE8: D1CB0034 87500B34
	v_fma_f32 v53, v53, s5, -v212                              // 000000006BF0: D1CB0035 87500B35
	v_fma_f32 v54, v54, s5, -v212                              // 000000006BF8: D1CB0036 87500B36
	v_fma_f32 v55, v55, s5, -v212                              // 000000006C00: D1CB0037 87500B37
	v_fma_f32 v56, v56, s5, -v212                              // 000000006C08: D1CB0038 87500B38
	v_fma_f32 v57, v57, s5, -v212                              // 000000006C10: D1CB0039 87500B39
	v_fma_f32 v58, v58, s5, -v212                              // 000000006C18: D1CB003A 87500B3A
	v_fma_f32 v59, v59, s5, -v212                              // 000000006C20: D1CB003B 87500B3B
	v_exp_f32_e32 v44, v44                                     // 000000006C28: 7E58412C
	v_exp_f32_e32 v45, v45                                     // 000000006C2C: 7E5A412D
	v_mfma_f32_32x32x64_f8f6f4 v[156:171], a[112:119], v[60:67], v[156:171]// 000000006C30: D3AE009C 0E727970
	ds_read_b128 a[104:107], v26 offset:4096                   // 000000006C38: DBFE1000 6800001A
	ds_read_b128 a[108:111], v27 offset:4096                   // 000000006C40: DBFE1000 6C00001B
	ds_read_b128 a[112:115], v26 offset:5120                   // 000000006C48: DBFE1400 7000001A
	ds_read_b128 a[116:119], v27 offset:5120                   // 000000006C50: DBFE1400 7400001B
	ds_read_b128 a[120:123], v26 offset:6144                   // 000000006C58: DBFE1800 7800001A
	ds_read_b128 a[124:127], v27 offset:6144                   // 000000006C60: DBFE1800 7C00001B
	v_exp_f32_e32 v46, v46                                     // 000000006C68: 7E5C412E
	v_exp_f32_e32 v47, v47                                     // 000000006C6C: 7E5E412F
	v_exp_f32_e32 v48, v48                                     // 000000006C70: 7E604130
	v_exp_f32_e32 v49, v49                                     // 000000006C74: 7E624131
	v_exp_f32_e32 v50, v50                                     // 000000006C78: 7E644132
	v_mfma_f32_32x32x64_f8f6f4 v[172:187], a[120:127], v[60:67], v[172:187]// 000000006C7C: D3AE00AC 0EB27978
	buffer_load_dwordx4 v217, s[20:23], 0 offen offset:192 lds // 000000006C84: E05D10C0 800500D9
	s_add_i32 m0, m0, 0x3c0                                    // 000000006C8C: 817CFF7C 000003C0
	v_exp_f32_e32 v51, v51                                     // 000000006C94: 7E664133
	v_exp_f32_e32 v52, v52                                     // 000000006C98: 7E684134
	v_exp_f32_e32 v53, v53                                     // 000000006C9C: 7E6A4135
	v_exp_f32_e32 v54, v54                                     // 000000006CA0: 7E6C4136
	v_exp_f32_e32 v55, v55                                     // 000000006CA4: 7E6E4137
	v_exp_f32_e32 v56, v56                                     // 000000006CA8: 7E704138
	v_exp_f32_e32 v57, v57                                     // 000000006CAC: 7E724139
	v_mfma_f32_32x32x64_f8f6f4 v[188:203], a[128:135], v[60:67], v[188:203]// 000000006CB0: D3AE00BC 0EF27980
	v_exp_f32_e32 v58, v58                                     // 000000006CB8: 7E74413A
	v_exp_f32_e32 v59, v59                                     // 000000006CBC: 7E76413B
	v_mul_f32_e32 v4, v21, v4                                  // 000000006CC0: 0A080915
	v_mov_b32_e32 v35, v44                                     // 000000006CC4: 7E46032C
	v_add_f32_e32 v35, v45, v35                                // 000000006CC8: 0246472D
	v_add_f32_e32 v35, v46, v35                                // 000000006CCC: 0246472E
	v_add_f32_e32 v35, v47, v35                                // 000000006CD0: 0246472F
	v_add_f32_e32 v35, v48, v35                                // 000000006CD4: 02464730
	ds_read_b128 a[128:131], v26 offset:7168                   // 000000006CD8: DBFE1C00 8000001A
	ds_read_b128 a[132:135], v27 offset:7168                   // 000000006CE0: DBFE1C00 8400001B
	ds_read_b128 a[136:139], v26 offset:8192                   // 000000006CE8: DBFE2000 8800001A
	ds_read_b128 a[140:143], v27 offset:8192                   // 000000006CF0: DBFE2000 8C00001B
	v_add_f32_e32 v35, v49, v35                                // 000000006CF8: 02464731
	v_add_f32_e32 v35, v50, v35                                // 000000006CFC: 02464732
	v_add_f32_e32 v35, v51, v35                                // 000000006D00: 02464733
	v_add_f32_e32 v35, v52, v35                                // 000000006D04: 02464734
	v_add_f32_e32 v35, v53, v35                                // 000000006D08: 02464735
	v_add_f32_e32 v35, v54, v35                                // 000000006D0C: 02464736
	v_add_f32_e32 v35, v55, v35                                // 000000006D10: 02464737
	v_add_f32_e32 v35, v56, v35                                // 000000006D14: 02464738
	v_add_f32_e32 v35, v57, v35                                // 000000006D18: 02464739
	v_add_f32_e32 v35, v58, v35                                // 000000006D1C: 0246473A
	v_add_f32_e32 v35, v59, v35                                // 000000006D20: 0246473B
	v_add_f32_e32 v4, v35, v4                                  // 000000006D24: 02080923
	v_cvt_pk_fp8_f32 v44, v44, v45                             // 000000006D28: D2A2002C 00025B2C
	v_cvt_pk_fp8_f32 v44, v46, v47 op_sel:[0,0,1]              // 000000006D30: D2A2402C 00025F2E
	v_cvt_pk_fp8_f32 v45, v48, v49                             // 000000006D38: D2A2002D 00026330
	v_cvt_pk_fp8_f32 v45, v50, v51 op_sel:[0,0,1]              // 000000006D40: D2A2402D 00026732
	v_cvt_pk_fp8_f32 v46, v52, v53                             // 000000006D48: D2A2002E 00026B34
	v_cvt_pk_fp8_f32 v46, v54, v55 op_sel:[0,0,1]              // 000000006D50: D2A2402E 00026F36
	v_cvt_pk_fp8_f32 v47, v56, v57                             // 000000006D58: D2A2002F 00027338
	v_cvt_pk_fp8_f32 v47, v58, v59 op_sel:[0,0,1]              // 000000006D60: D2A2402F 0002773A
	s_waitcnt lgkmcnt(8)                                       // 000000006D68: BF8CC87F
	v_mfma_f32_32x32x64_f8f6f4 v[60:75], a[72:79], a[0:7], 0   // 000000006D6C: D3AE003C 1A020148
	ds_write_b128 v43, v[44:47] offset:1024                    // 000000006D74: D9BE0400 00002C2B
	v_mul_f32_e32 v76, v21, v76                                // 000000006D7C: 0A989915
	v_mul_f32_e32 v77, v21, v77                                // 000000006D80: 0A9A9B15
	v_mul_f32_e32 v78, v21, v78                                // 000000006D84: 0A9C9D15
	v_mul_f32_e32 v79, v21, v79                                // 000000006D88: 0A9E9F15
	v_mul_f32_e32 v80, v21, v80                                // 000000006D8C: 0AA0A115
	v_mul_f32_e32 v81, v21, v81                                // 000000006D90: 0AA2A315
	v_mul_f32_e32 v82, v21, v82                                // 000000006D94: 0AA4A515
	v_mul_f32_e32 v83, v21, v83                                // 000000006D98: 0AA6A715
	v_mul_f32_e32 v84, v21, v84                                // 000000006D9C: 0AA8A915
	v_mul_f32_e32 v85, v21, v85                                // 000000006DA0: 0AAAAB15
	v_mul_f32_e32 v86, v21, v86                                // 000000006DA4: 0AACAD15
	v_mul_f32_e32 v87, v21, v87                                // 000000006DA8: 0AAEAF15
	v_mul_f32_e32 v88, v21, v88                                // 000000006DAC: 0AB0B115
	v_mul_f32_e32 v89, v21, v89                                // 000000006DB0: 0AB2B315
	v_mfma_f32_32x32x64_f8f6f4 v[60:75], a[80:87], a[8:15], v[60:75]// 000000006DB4: D3AE003C 1CF21150
	buffer_load_dword v31, v34, s[24:27], 0 offen              // 000000006DBC: E0501000 80061F22
	buffer_load_dwordx4 v217, s[20:23], 0 offen offset:256 lds // 000000006DC4: E05D1100 800500D9
	s_add_i32 m0, m0, 0x3c0                                    // 000000006DCC: 817CFF7C 000003C0
	v_mul_f32_e32 v90, v21, v90                                // 000000006DD4: 0AB4B515
	v_mul_f32_e32 v91, v21, v91                                // 000000006DD8: 0AB6B715
	v_mul_f32_e32 v92, v21, v92                                // 000000006DDC: 0AB8B915
	v_mul_f32_e32 v93, v21, v93                                // 000000006DE0: 0ABABB15
	v_mul_f32_e32 v94, v21, v94                                // 000000006DE4: 0ABCBD15
	v_mul_f32_e32 v95, v21, v95                                // 000000006DE8: 0ABEBF15
	v_mov_b32_e32 v36, v21                                     // 000000006DEC: 7E480315
	v_mov_b32_e32 v37, v21                                     // 000000006DF0: 7E4A0315
	v_pk_mul_f32 v[140:141], v[36:37], v[140:141]              // 000000006DF4: D3B1408C 18031924
	v_pk_mul_f32 v[142:143], v[36:37], v[142:143]              // 000000006DFC: D3B1408E 18031D24
	s_waitcnt lgkmcnt(0)                                       // 000000006E04: BF8CC07F
	s_barrier                                                  // 000000006E08: BF8A0000
	v_mfma_f32_32x32x64_f8f6f4 v[60:75], a[88:95], a[16:23], v[60:75]// 000000006E0C: D3AE003C 1CF22158
	ds_read_b128 v[44:47], v42 offset:1024                     // 000000006E14: D9FE0400 2C00002A
	ds_read_b128 v[48:51], v42 offset:2048                     // 000000006E1C: D9FE0800 3000002A
	ds_read_b64_tr_b8 a[72:73], v9                             // 000000006E24: DBC40000 48000009
	ds_read_b64_tr_b8 a[74:75], v10                            // 000000006E2C: DBC40000 4A00000A
	ds_read_b64_tr_b8 a[76:77], v9 offset:18432                // 000000006E34: DBC44800 4C000009
	ds_read_b64_tr_b8 a[78:79], v10 offset:18432               // 000000006E3C: DBC44800 4E00000A
	ds_read_b64_tr_b8 a[80:81], v11                            // 000000006E44: DBC40000 5000000B
	ds_read_b64_tr_b8 a[82:83], v12                            // 000000006E4C: DBC40000 5200000C
	ds_read_b64_tr_b8 a[84:85], v11 offset:18432               // 000000006E54: DBC44800 5400000B
	ds_read_b64_tr_b8 a[86:87], v12 offset:18432               // 000000006E5C: DBC44800 5600000C
	v_mul_f32_e32 v96, v21, v96                                // 000000006E64: 0AC0C115
	v_mul_f32_e32 v97, v21, v97                                // 000000006E68: 0AC2C315
	v_mul_f32_e32 v98, v21, v98                                // 000000006E6C: 0AC4C515
	v_mul_f32_e32 v99, v21, v99                                // 000000006E70: 0AC6C715
	v_mul_f32_e32 v100, v21, v100                              // 000000006E74: 0AC8C915
	v_mul_f32_e32 v101, v21, v101                              // 000000006E78: 0ACACB15
	v_mul_f32_e32 v102, v21, v102                              // 000000006E7C: 0ACCCD15
	v_mul_f32_e32 v103, v21, v103                              // 000000006E80: 0ACECF15
	v_mul_f32_e32 v104, v21, v104                              // 000000006E84: 0AD0D115
	v_mul_f32_e32 v105, v21, v105                              // 000000006E88: 0AD2D315
	v_mul_f32_e32 v106, v21, v106                              // 000000006E8C: 0AD4D515
	v_mul_f32_e32 v107, v21, v107                              // 000000006E90: 0AD6D715
	v_add_u32_e32 v34, s73, v34                                // 000000006E94: 68444449
	v_mfma_f32_32x32x64_f8f6f4 v[60:75], a[96:103], a[24:31], v[60:75]// 000000006E98: D3AE003C 1CF23160
	buffer_load_dwordx4 v217, s[20:23], 0 offen offset:320 lds // 000000006EA0: E05D1140 800500D9
	s_add_i32 m0, m0, 0x3c0                                    // 000000006EA8: 817CFF7C 000003C0
	v_mul_f32_e32 v108, v21, v108                              // 000000006EB0: 0AD8D915
	v_mul_f32_e32 v109, v21, v109                              // 000000006EB4: 0ADADB15
	v_mul_f32_e32 v110, v21, v110                              // 000000006EB8: 0ADCDD15
	v_mul_f32_e32 v111, v21, v111                              // 000000006EBC: 0ADEDF15
	v_mul_f32_e32 v112, v21, v112                              // 000000006EC0: 0AE0E115
	v_mul_f32_e32 v113, v21, v113                              // 000000006EC4: 0AE2E315
	v_mul_f32_e32 v114, v21, v114                              // 000000006EC8: 0AE4E515
	v_mul_f32_e32 v115, v21, v115                              // 000000006ECC: 0AE6E715
	v_mul_f32_e32 v116, v21, v116                              // 000000006ED0: 0AE8E915
	v_mul_f32_e32 v117, v21, v117                              // 000000006ED4: 0AEAEB15
	v_mul_f32_e32 v118, v21, v118                              // 000000006ED8: 0AECED15
	v_mul_f32_e32 v119, v21, v119                              // 000000006EDC: 0AEEEF15
	v_mfma_f32_32x32x64_f8f6f4 v[60:75], a[104:111], a[32:39], v[60:75]// 000000006EE0: D3AE003C 1CF24168
	ds_read_b64_tr_b8 a[88:89], v9 offset:1024                 // 000000006EE8: DBC40400 58000009
	ds_read_b64_tr_b8 a[90:91], v10 offset:1024                // 000000006EF0: DBC40400 5A00000A
	ds_read_b64_tr_b8 a[92:93], v9 offset:19456                // 000000006EF8: DBC44C00 5C000009
	ds_read_b64_tr_b8 a[94:95], v10 offset:19456               // 000000006F00: DBC44C00 5E00000A
	ds_read_b64_tr_b8 a[96:97], v11 offset:1024                // 000000006F08: DBC40400 6000000B
	ds_read_b64_tr_b8 a[98:99], v12 offset:1024                // 000000006F10: DBC40400 6200000C
	ds_read_b64_tr_b8 a[100:101], v11 offset:19456             // 000000006F18: DBC44C00 6400000B
	ds_read_b64_tr_b8 a[102:103], v12 offset:19456             // 000000006F20: DBC44C00 6600000C
	v_mul_f32_e32 v120, v21, v120                              // 000000006F28: 0AF0F115
	v_mul_f32_e32 v121, v21, v121                              // 000000006F2C: 0AF2F315
	v_mul_f32_e32 v122, v21, v122                              // 000000006F30: 0AF4F515
	v_mul_f32_e32 v123, v21, v123                              // 000000006F34: 0AF6F715
	v_mul_f32_e32 v124, v21, v124                              // 000000006F38: 0AF8F915
	v_mul_f32_e32 v125, v21, v125                              // 000000006F3C: 0AFAFB15
	v_mul_f32_e32 v126, v21, v126                              // 000000006F40: 0AFCFD15
	v_mul_f32_e32 v127, v21, v127                              // 000000006F44: 0AFEFF15
	v_mul_f32_e32 v128, v21, v128                              // 000000006F48: 0B010115
	v_mul_f32_e32 v129, v21, v129                              // 000000006F4C: 0B030315
	v_mul_f32_e32 v130, v21, v130                              // 000000006F50: 0B050515
	v_mul_f32_e32 v131, v21, v131                              // 000000006F54: 0B070715
	v_mfma_f32_32x32x64_f8f6f4 v[60:75], a[112:119], a[40:47], v[60:75]// 000000006F58: D3AE003C 1CF25170
	s_waitcnt lgkmcnt(0)                                       // 000000006F60: BF8CC07F
	buffer_load_dwordx4 v217, s[20:23], 0 offen offset:384 lds // 000000006F64: E05D1180 800500D9
	s_add_i32 m0, m0, 0x3c0                                    // 000000006F6C: 817CFF7C 000003C0
	v_mul_f32_e32 v132, v21, v132                              // 000000006F74: 0B090915
	v_mul_f32_e32 v133, v21, v133                              // 000000006F78: 0B0B0B15
	v_mul_f32_e32 v134, v21, v134                              // 000000006F7C: 0B0D0D15
	v_mul_f32_e32 v135, v21, v135                              // 000000006F80: 0B0F0F15
	v_mul_f32_e32 v136, v21, v136                              // 000000006F84: 0B111115
	v_mul_f32_e32 v137, v21, v137                              // 000000006F88: 0B131315
	v_mul_f32_e32 v138, v21, v138                              // 000000006F8C: 0B151515
	v_mul_f32_e32 v139, v21, v139                              // 000000006F90: 0B171715
	v_mfma_f32_32x32x64_f8f6f4 v[60:75], a[120:127], a[48:55], v[60:75]// 000000006F94: D3AE003C 1CF26178
	ds_read_b64_tr_b8 a[104:105], v9 offset:2048               // 000000006F9C: DBC40800 68000009
	ds_read_b64_tr_b8 a[106:107], v10 offset:2048              // 000000006FA4: DBC40800 6A00000A
	ds_read_b64_tr_b8 a[108:109], v9 offset:20480              // 000000006FAC: DBC45000 6C000009
	ds_read_b64_tr_b8 a[110:111], v10 offset:20480             // 000000006FB4: DBC45000 6E00000A
	ds_read_b64_tr_b8 a[112:113], v11 offset:2048              // 000000006FBC: DBC40800 7000000B
	ds_read_b64_tr_b8 a[114:115], v12 offset:2048              // 000000006FC4: DBC40800 7200000C
	ds_read_b64_tr_b8 a[116:117], v11 offset:20480             // 000000006FCC: DBC45000 7400000B
	ds_read_b64_tr_b8 a[118:119], v12 offset:20480             // 000000006FD4: DBC45000 7600000C
	v_permlane32_swap_b32_e32 v44, v46                         // 000000006FDC: 7E58B52E
	v_permlane32_swap_b32_e32 v45, v47                         // 000000006FE0: 7E5AB52F
	v_swap_b32 v45, v46                                        // 000000006FE4: 7E5AA32E
	v_permlane32_swap_b32_e32 v48, v50                         // 000000006FE8: 7E60B532
	v_permlane32_swap_b32_e32 v49, v51                         // 000000006FEC: 7E62B533
	v_swap_b32 v49, v50                                        // 000000006FF0: 7E62A332
	v_mfma_f32_32x32x64_f8f6f4 v[60:75], a[128:135], a[56:63], v[60:75]// 000000006FF4: D3AE003C 1CF27180
	buffer_load_dwordx4 v217, s[20:23], 0 offen offset:448 lds // 000000006FFC: E05D11C0 800500D9
	s_add_i32 m0, m0, 0x3c0                                    // 000000007004: 817CFF7C 000003C0
	v_pk_mul_f32 v[144:145], v[36:37], v[144:145]              // 00000000700C: D3B14090 18032124
	v_pk_mul_f32 v[146:147], v[36:37], v[146:147]              // 000000007014: D3B14092 18032524
	v_pk_mul_f32 v[148:149], v[36:37], v[148:149]              // 00000000701C: D3B14094 18032924
	v_pk_mul_f32 v[150:151], v[36:37], v[150:151]              // 000000007024: D3B14096 18032D24
	v_pk_mul_f32 v[152:153], v[36:37], v[152:153]              // 00000000702C: D3B14098 18033124
	v_pk_mul_f32 v[154:155], v[36:37], v[154:155]              // 000000007034: D3B1409A 18033524
	v_pk_mul_f32 v[156:157], v[36:37], v[156:157]              // 00000000703C: D3B1409C 18033924
	v_pk_mul_f32 v[158:159], v[36:37], v[158:159]              // 000000007044: D3B1409E 18033D24
	v_pk_mul_f32 v[160:161], v[36:37], v[160:161]              // 00000000704C: D3B140A0 18034124
	v_pk_mul_f32 v[162:163], v[36:37], v[162:163]              // 000000007054: D3B140A2 18034524
	v_pk_mul_f32 v[164:165], v[36:37], v[164:165]              // 00000000705C: D3B140A4 18034924
	v_pk_mul_f32 v[166:167], v[36:37], v[166:167]              // 000000007064: D3B140A6 18034D24
	v_pk_mul_f32 v[168:169], v[36:37], v[168:169]              // 00000000706C: D3B140A8 18035124
	v_pk_mul_f32 v[170:171], v[36:37], v[170:171]              // 000000007074: D3B140AA 18035524
	v_pk_mul_f32 v[172:173], v[36:37], v[172:173]              // 00000000707C: D3B140AC 18035924
	v_pk_mul_f32 v[174:175], v[36:37], v[174:175]              // 000000007084: D3B140AE 18035D24
	v_pk_mul_f32 v[176:177], v[36:37], v[176:177]              // 00000000708C: D3B140B0 18036124
	v_pk_mul_f32 v[178:179], v[36:37], v[178:179]              // 000000007094: D3B140B2 18036524
	v_pk_mul_f32 v[180:181], v[36:37], v[180:181]              // 00000000709C: D3B140B4 18036924
	v_pk_mul_f32 v[182:183], v[36:37], v[182:183]              // 0000000070A4: D3B140B6 18036D24
	v_pk_mul_f32 v[184:185], v[36:37], v[184:185]              // 0000000070AC: D3B140B8 18037124
	v_pk_mul_f32 v[186:187], v[36:37], v[186:187]              // 0000000070B4: D3B140BA 18037524
	v_pk_mul_f32 v[188:189], v[36:37], v[188:189]              // 0000000070BC: D3B140BC 18037924
	v_pk_mul_f32 v[190:191], v[36:37], v[190:191]              // 0000000070C4: D3B140BE 18037D24
	v_pk_mul_f32 v[192:193], v[36:37], v[192:193]              // 0000000070CC: D3B140C0 18038124
	v_pk_mul_f32 v[194:195], v[36:37], v[194:195]              // 0000000070D4: D3B140C2 18038524
	v_pk_mul_f32 v[196:197], v[36:37], v[196:197]              // 0000000070DC: D3B140C4 18038924
	v_pk_mul_f32 v[198:199], v[36:37], v[198:199]              // 0000000070E4: D3B140C6 18038D24
	v_pk_mul_f32 v[200:201], v[36:37], v[200:201]              // 0000000070EC: D3B140C8 18039124
	v_pk_mul_f32 v[202:203], v[36:37], v[202:203]              // 0000000070F4: D3B140CA 18039524
	v_mfma_f32_32x32x64_f8f6f4 v[60:75], a[136:143], a[64:71], v[60:75]// 0000000070FC: D3AE003C 1CF28188
	ds_read_b64_tr_b8 a[120:121], v9 offset:3072               // 000000007104: DBC40C00 78000009
	ds_read_b64_tr_b8 a[122:123], v10 offset:3072              // 00000000710C: DBC40C00 7A00000A
	ds_read_b64_tr_b8 a[124:125], v9 offset:21504              // 000000007114: DBC45400 7C000009
	ds_read_b64_tr_b8 a[126:127], v10 offset:21504             // 00000000711C: DBC45400 7E00000A
	ds_read_b64_tr_b8 a[128:129], v11 offset:3072              // 000000007124: DBC40C00 8000000B
	ds_read_b64_tr_b8 a[130:131], v12 offset:3072              // 00000000712C: DBC40C00 8200000C
	ds_read_b64_tr_b8 a[132:133], v11 offset:21504             // 000000007134: DBC45400 8400000B
	ds_read_b64_tr_b8 a[134:135], v12 offset:21504             // 00000000713C: DBC45400 8600000C
	buffer_load_dwordx4 v217, s[20:23], 0 offen offset:512 lds // 000000007144: E05D1200 800500D9
	s_add_i32 m0, m0, 0x3c0                                    // 00000000714C: 817CFF7C 000003C0
	s_addk_i32 s70, 0x1                                        // 000000007154: B7460001
	s_cmp_lt_i32 s70, s71                                      // 000000007158: BF044746
	s_cbranch_scc0 label_3184                                  // 00000000715C: BF84F8C9
	s_branch label_3190                                        // 000000007160: BF82F8CB

0000000000007164 <label_4E64>:
	ds_read_b64_tr_b8 a[72:73], v9                             // 000000007164: DBC40000 48000009
	ds_read_b64_tr_b8 a[74:75], v10                            // 00000000716C: DBC40000 4A00000A
	ds_read_b64_tr_b8 a[76:77], v9 offset:18432                // 000000007174: DBC44800 4C000009
	ds_read_b64_tr_b8 a[78:79], v10 offset:18432               // 00000000717C: DBC44800 4E00000A
	ds_read_b64_tr_b8 a[80:81], v11                            // 000000007184: DBC40000 5000000B
	ds_read_b64_tr_b8 a[82:83], v12                            // 00000000718C: DBC40000 5200000C
	ds_read_b64_tr_b8 a[84:85], v11 offset:18432               // 000000007194: DBC44800 5400000B
	ds_read_b64_tr_b8 a[86:87], v12 offset:18432               // 00000000719C: DBC44800 5600000C
	ds_read_b64_tr_b8 a[88:89], v9 offset:1024                 // 0000000071A4: DBC40400 58000009
	ds_read_b64_tr_b8 a[90:91], v10 offset:1024                // 0000000071AC: DBC40400 5A00000A
	ds_read_b64_tr_b8 a[92:93], v9 offset:19456                // 0000000071B4: DBC44C00 5C000009
	ds_read_b64_tr_b8 a[94:95], v10 offset:19456               // 0000000071BC: DBC44C00 5E00000A
	ds_read_b64_tr_b8 a[96:97], v11 offset:1024                // 0000000071C4: DBC40400 6000000B
	ds_read_b64_tr_b8 a[98:99], v12 offset:1024                // 0000000071CC: DBC40400 6200000C
	ds_read_b64_tr_b8 a[100:101], v11 offset:19456             // 0000000071D4: DBC44C00 6400000B
	ds_read_b64_tr_b8 a[102:103], v12 offset:19456             // 0000000071DC: DBC44C00 6600000C
	ds_read_b64_tr_b8 a[104:105], v9 offset:2048               // 0000000071E4: DBC40800 68000009
	ds_read_b64_tr_b8 a[106:107], v10 offset:2048              // 0000000071EC: DBC40800 6A00000A
	ds_read_b64_tr_b8 a[108:109], v9 offset:20480              // 0000000071F4: DBC45000 6C000009
	ds_read_b64_tr_b8 a[110:111], v10 offset:20480             // 0000000071FC: DBC45000 6E00000A
	ds_read_b64_tr_b8 a[112:113], v11 offset:2048              // 000000007204: DBC40800 7000000B
	ds_read_b64_tr_b8 a[114:115], v12 offset:2048              // 00000000720C: DBC40800 7200000C
	ds_read_b64_tr_b8 a[116:117], v11 offset:20480             // 000000007214: DBC45000 7400000B
	ds_read_b64_tr_b8 a[118:119], v12 offset:20480             // 00000000721C: DBC45000 7600000C
	ds_read_b64_tr_b8 a[120:121], v9 offset:3072               // 000000007224: DBC40C00 78000009
	ds_read_b64_tr_b8 a[122:123], v10 offset:3072              // 00000000722C: DBC40C00 7A00000A
	ds_read_b64_tr_b8 a[124:125], v9 offset:21504              // 000000007234: DBC45400 7C000009
	ds_read_b64_tr_b8 a[126:127], v10 offset:21504             // 00000000723C: DBC45400 7E00000A
	ds_read_b64_tr_b8 a[128:129], v11 offset:3072              // 000000007244: DBC40C00 8000000B
	ds_read_b64_tr_b8 a[130:131], v12 offset:3072              // 00000000724C: DBC40C00 8200000C
	ds_read_b64_tr_b8 a[132:133], v11 offset:21504             // 000000007254: DBC45400 8400000B
	ds_read_b64_tr_b8 a[134:135], v12 offset:21504             // 00000000725C: DBC45400 8600000C
	s_waitcnt lgkmcnt(4)                                       // 000000007264: BF8CC47F
	v_mfma_f32_32x32x64_f8f6f4 v[76:91], a[72:79], v[44:51], v[76:91]// 000000007268: D3AE004C 0D325948
	ds_read_b128 a[72:75], v26                                 // 000000007270: DBFE0000 4800001A
	ds_read_b128 a[76:79], v27                                 // 000000007278: DBFE0000 4C00001B
	v_mfma_f32_32x32x64_f8f6f4 v[92:107], a[80:87], v[44:51], v[92:107]// 000000007280: D3AE005C 0D725950
	ds_read_b128 a[80:83], v26 offset:1024                     // 000000007288: DBFE0400 5000001A
	ds_read_b128 a[84:87], v27 offset:1024                     // 000000007290: DBFE0400 5400001B
	v_mfma_f32_32x32x64_f8f6f4 v[108:123], a[88:95], v[44:51], v[108:123]// 000000007298: D3AE006C 0DB25958
	ds_read_b128 a[88:91], v26 offset:2048                     // 0000000072A0: DBFE0800 5800001A
	ds_read_b128 a[92:95], v27 offset:2048                     // 0000000072A8: DBFE0800 5C00001B
	v_mfma_f32_32x32x64_f8f6f4 v[124:139], a[96:103], v[44:51], v[124:139]// 0000000072B0: D3AE007C 0DF25960
	ds_read_b128 a[96:99], v26 offset:3072                     // 0000000072B8: DBFE0C00 6000001A
	ds_read_b128 a[100:103], v27 offset:3072                   // 0000000072C0: DBFE0C00 6400001B
	v_mfma_f32_32x32x64_f8f6f4 v[140:155], a[104:111], v[44:51], v[140:155]// 0000000072C8: D3AE008C 0E325968
	ds_read_b128 a[104:107], v26 offset:4096                   // 0000000072D0: DBFE1000 6800001A
	ds_read_b128 a[108:111], v27 offset:4096                   // 0000000072D8: DBFE1000 6C00001B
	v_mfma_f32_32x32x64_f8f6f4 v[156:171], a[112:119], v[44:51], v[156:171]// 0000000072E0: D3AE009C 0E725970
	ds_read_b128 a[112:115], v26 offset:5120                   // 0000000072E8: DBFE1400 7000001A
	ds_read_b128 a[116:119], v27 offset:5120                   // 0000000072F0: DBFE1400 7400001B
	v_mfma_f32_32x32x64_f8f6f4 v[172:187], a[120:127], v[44:51], v[172:187]// 0000000072F8: D3AE00AC 0EB25978
	ds_read_b128 a[120:123], v26 offset:6144                   // 000000007300: DBFE1800 7800001A
	ds_read_b128 a[124:127], v27 offset:6144                   // 000000007308: DBFE1800 7C00001B
	v_mfma_f32_32x32x64_f8f6f4 v[188:203], a[128:135], v[44:51], v[188:203]// 000000007310: D3AE00BC 0EF25980
	ds_read_b128 a[128:131], v26 offset:7168                   // 000000007318: DBFE1C00 8000001A
	ds_read_b128 a[132:135], v27 offset:7168                   // 000000007320: DBFE1C00 8400001B
	ds_read_b128 a[136:139], v26 offset:8192                   // 000000007328: DBFE2000 8800001A
	ds_read_b128 a[140:143], v27 offset:8192                   // 000000007330: DBFE2000 8C00001B
	s_branch label_7600                                        // 000000007338: BF820971

000000000000733c <label_503C>:
	s_and_b32 s56, 3, s71                                      // 00000000733C: 86384783
	s_cmp_eq_i32 s56, 1                                        // 000000007340: BF008138
	s_cbranch_scc1 label_5060                                  // 000000007344: BF850006
	s_cmp_eq_i32 s56, 2                                        // 000000007348: BF008238
	s_cbranch_scc1 label_59C8                                  // 00000000734C: BF85025E
	s_cmp_eq_i32 s56, 3                                        // 000000007350: BF008338
	s_cbranch_scc1 label_6330                                  // 000000007354: BF8504B6
	s_cmp_eq_i32 s56, 0                                        // 000000007358: BF008038
	s_cbranch_scc1 label_6C98                                  // 00000000735C: BF85070E

0000000000007360 <label_5060>:
	s_mov_b32 s56, 64                                          // 000000007360: BEB800C0
	s_mul_i32 s83, s56, s71                                    // 000000007364: 92534738
	s_cmp_le_i32 s83, s82                                      // 000000007368: BF055253
	s_cbranch_scc1 label_5254                                  // 00000000736C: BF850079
	s_mov_b32 s36, 0xffff0000                                  // 000000007370: BEA400FF FFFF0000
	s_mov_b32 s37, 0xffff0000                                  // 000000007378: BEA500FF FFFF0000
	v_mov_b32_e32 v36, s82                                     // 000000007380: 7E480252
	s_add_i32 s56, s82, 1                                      // 000000007384: 81388152
	v_mov_b32_e32 v37, s56                                     // 000000007388: 7E4A0238
	v_cndmask_b32_e64 v35, v36, v37, s[36:37]                  // 00000000738C: D1000023 00924B24
	s_and_b32 s56, 2, s7                                       // 000000007394: 86380782
	v_add_i32 v35, s56, v35                                    // 000000007398: D29C0023 00024638
	s_sub_u32 s56, s83, 64                                     // 0000000073A0: 80B8C053
	v_lshrrev_b32_e32 v204, 5, v0                              // 0000000073A4: 21980085
	v_mul_i32_i24_e32 v204, 4, v204                            // 0000000073A8: 0D999884
	v_add_u32_e32 v204, s56, v204                              // 0000000073AC: 69999838
	s_and_b32 s56, s7, 1                                       // 0000000073B0: 86388107
	s_mov_b32 s57, 32                                          // 0000000073B4: BEB900A0
	s_mul_i32 s56, s57, s56                                    // 0000000073B8: 92383839
	v_add_u32_e32 v204, s56, v204                              // 0000000073BC: 69999838
	v_add_u32_e32 v205, 1, v204                                // 0000000073C0: 699B9881
	v_add_u32_e32 v206, 2, v204                                // 0000000073C4: 699D9882
	v_add_u32_e32 v207, 3, v204                                // 0000000073C8: 699F9883
	v_mov_b32_e32 v37, 0xff800000                              // 0000000073CC: 7E4A02FF FF800000
	v_cmp_le_i32_e64 s[36:37], v204, v35                       // 0000000073D4: D0C30024 000247CC
	s_nop 0                                                    // 0000000073DC: BF800000
	v_cndmask_b32_e64 v44, v37, v44, s[36:37]                  // 0000000073E0: D100002C 00925925
	v_add_u32_e32 v204, 8, v204                                // 0000000073E8: 69999888
	v_cmp_le_i32_e64 s[36:37], v205, v35                       // 0000000073EC: D0C30024 000247CD
	s_nop 0                                                    // 0000000073F4: BF800000
	v_cndmask_b32_e64 v45, v37, v45, s[36:37]                  // 0000000073F8: D100002D 00925B25
	v_add_u32_e32 v205, 8, v205                                // 000000007400: 699B9A88
	v_cmp_le_i32_e64 s[36:37], v206, v35                       // 000000007404: D0C30024 000247CE
	s_nop 0                                                    // 00000000740C: BF800000
	v_cndmask_b32_e64 v46, v37, v46, s[36:37]                  // 000000007410: D100002E 00925D25
	v_add_u32_e32 v206, 8, v206                                // 000000007418: 699D9C88
	v_cmp_le_i32_e64 s[36:37], v207, v35                       // 00000000741C: D0C30024 000247CF
	s_nop 0                                                    // 000000007424: BF800000
	v_cndmask_b32_e64 v47, v37, v47, s[36:37]                  // 000000007428: D100002F 00925F25
	v_add_u32_e32 v207, 8, v207                                // 000000007430: 699F9E88
	v_cmp_le_i32_e64 s[36:37], v204, v35                       // 000000007434: D0C30024 000247CC
	s_nop 0                                                    // 00000000743C: BF800000
	v_cndmask_b32_e64 v48, v37, v48, s[36:37]                  // 000000007440: D1000030 00926125
	v_add_u32_e32 v204, 8, v204                                // 000000007448: 69999888
	v_cmp_le_i32_e64 s[36:37], v205, v35                       // 00000000744C: D0C30024 000247CD
	s_nop 0                                                    // 000000007454: BF800000
	v_cndmask_b32_e64 v49, v37, v49, s[36:37]                  // 000000007458: D1000031 00926325
	v_add_u32_e32 v205, 8, v205                                // 000000007460: 699B9A88
	v_cmp_le_i32_e64 s[36:37], v206, v35                       // 000000007464: D0C30024 000247CE
	s_nop 0                                                    // 00000000746C: BF800000
	v_cndmask_b32_e64 v50, v37, v50, s[36:37]                  // 000000007470: D1000032 00926525
	v_add_u32_e32 v206, 8, v206                                // 000000007478: 699D9C88
	v_cmp_le_i32_e64 s[36:37], v207, v35                       // 00000000747C: D0C30024 000247CF
	s_nop 0                                                    // 000000007484: BF800000
	v_cndmask_b32_e64 v51, v37, v51, s[36:37]                  // 000000007488: D1000033 00926725
	v_add_u32_e32 v207, 8, v207                                // 000000007490: 699F9E88
	v_cmp_le_i32_e64 s[36:37], v204, v35                       // 000000007494: D0C30024 000247CC
	s_nop 0                                                    // 00000000749C: BF800000
	v_cndmask_b32_e64 v52, v37, v52, s[36:37]                  // 0000000074A0: D1000034 00926925
	v_add_u32_e32 v204, 8, v204                                // 0000000074A8: 69999888
	v_cmp_le_i32_e64 s[36:37], v205, v35                       // 0000000074AC: D0C30024 000247CD
	s_nop 0                                                    // 0000000074B4: BF800000
	v_cndmask_b32_e64 v53, v37, v53, s[36:37]                  // 0000000074B8: D1000035 00926B25
	v_add_u32_e32 v205, 8, v205                                // 0000000074C0: 699B9A88
	v_cmp_le_i32_e64 s[36:37], v206, v35                       // 0000000074C4: D0C30024 000247CE
	s_nop 0                                                    // 0000000074CC: BF800000
	v_cndmask_b32_e64 v54, v37, v54, s[36:37]                  // 0000000074D0: D1000036 00926D25
	v_add_u32_e32 v206, 8, v206                                // 0000000074D8: 699D9C88
	v_cmp_le_i32_e64 s[36:37], v207, v35                       // 0000000074DC: D0C30024 000247CF
	s_nop 0                                                    // 0000000074E4: BF800000
	v_cndmask_b32_e64 v55, v37, v55, s[36:37]                  // 0000000074E8: D1000037 00926F25
	v_add_u32_e32 v207, 8, v207                                // 0000000074F0: 699F9E88
	v_cmp_le_i32_e64 s[36:37], v204, v35                       // 0000000074F4: D0C30024 000247CC
	s_nop 0                                                    // 0000000074FC: BF800000
	v_cndmask_b32_e64 v56, v37, v56, s[36:37]                  // 000000007500: D1000038 00927125
	v_add_u32_e32 v204, 8, v204                                // 000000007508: 69999888
	v_cmp_le_i32_e64 s[36:37], v205, v35                       // 00000000750C: D0C30024 000247CD
	s_nop 0                                                    // 000000007514: BF800000
	v_cndmask_b32_e64 v57, v37, v57, s[36:37]                  // 000000007518: D1000039 00927325
	v_add_u32_e32 v205, 8, v205                                // 000000007520: 699B9A88
	v_cmp_le_i32_e64 s[36:37], v206, v35                       // 000000007524: D0C30024 000247CE
	s_nop 0                                                    // 00000000752C: BF800000
	v_cndmask_b32_e64 v58, v37, v58, s[36:37]                  // 000000007530: D100003A 00927525
	v_add_u32_e32 v206, 8, v206                                // 000000007538: 699D9C88
	v_cmp_le_i32_e64 s[36:37], v207, v35                       // 00000000753C: D0C30024 000247CF
	s_nop 0                                                    // 000000007544: BF800000
	v_cndmask_b32_e64 v59, v37, v59, s[36:37]                  // 000000007548: D100003B 00927725
	v_add_u32_e32 v207, 8, v207                                // 000000007550: 699F9E88

0000000000007554 <label_5254>:
	s_add_u32 s83, s84, s83                                    // 000000007554: 80535354
	s_nop 2                                                    // 000000007558: BF800002
	v_mov_b32_e32 v213, v44                                    // 00000000755C: 7FAA032C
	v_max3_f32 v213, v44, v45, v213                            // 000000007560: D1D300D5 07565B2C
	v_max3_f32 v213, v46, v47, v213                            // 000000007568: D1D300D5 07565F2E
	v_max3_f32 v213, v48, v49, v213                            // 000000007570: D1D300D5 07566330
	v_max3_f32 v213, v50, v51, v213                            // 000000007578: D1D300D5 07566732
	v_max3_f32 v213, v52, v53, v213                            // 000000007580: D1D300D5 07566B34
	v_max3_f32 v213, v54, v55, v213                            // 000000007588: D1D300D5 07566F36
	v_max3_f32 v213, v56, v57, v213                            // 000000007590: D1D300D5 07567338
	v_max3_f32 v213, v58, v59, v213                            // 000000007598: D1D300D5 0756773A
	v_mov_b32_e32 v35, v213                                    // 0000000075A0: 7E4603D5
	v_mov_b32_e32 v36, v213                                    // 0000000075A4: 7E4803D5
	s_nop 1                                                    // 0000000075A8: BF800001
	v_permlane32_swap_b32_e32 v35, v36                         // 0000000075AC: 7E46B524
	v_max3_f32 v213, v35, v36, v213                            // 0000000075B0: D1D300D5 07564923
	ds_write_b32 v41, v213                                     // 0000000075B8: D81A0000 0000D529
	s_waitcnt lgkmcnt(0)                                       // 0000000075C0: BF8CC07F
	s_barrier                                                  // 0000000075C4: BF8A0000
	ds_read_b32 v35, v40                                       // 0000000075C8: D86C0000 23000028
	ds_read_b32 v36, v40 offset:256                            // 0000000075D0: D86C0100 24000028
	s_waitcnt lgkmcnt(0)                                       // 0000000075D8: BF8CC07F
	v_max3_f32 v213, v35, v36, v213                            // 0000000075DC: D1D300D5 07564923
	v_mov_b32_e32 v35, 0xff800000                              // 0000000075E4: 7E4602FF FF800000
	v_cmp_eq_u32_e64 s[36:37], v35, v2                         // 0000000075EC: D0CA0024 00020523
	v_max_f32_e32 v216, v213, v2                               // 0000000075F4: 17B005D5
	v_sub_f32_e32 v21, v2, v216                                // 0000000075F8: 042BB102
	v_cndmask_b32_e64 v21, v21, 0, s[36:37]                    // 0000000075FC: D1000015 00910115
	v_mov_b32_e32 v2, v216                                     // 000000007604: 7E0403D8
	v_mul_f32_e32 v212, s5, v216                               // 000000007608: 0BA9B005
	v_mul_f32_e32 v21, s5, v21                                 // 00000000760C: 0A2A2A05
	v_exp_f32_e32 v21, v21                                     // 000000007610: 7E2A4115
	v_fma_f32 v44, v44, s5, -v212                              // 000000007614: D1CB002C 87500B2C
	v_fma_f32 v45, v45, s5, -v212                              // 00000000761C: D1CB002D 87500B2D
	v_fma_f32 v46, v46, s5, -v212                              // 000000007624: D1CB002E 87500B2E
	v_fma_f32 v47, v47, s5, -v212                              // 00000000762C: D1CB002F 87500B2F
	v_fma_f32 v48, v48, s5, -v212                              // 000000007634: D1CB0030 87500B30
	v_fma_f32 v49, v49, s5, -v212                              // 00000000763C: D1CB0031 87500B31
	v_fma_f32 v50, v50, s5, -v212                              // 000000007644: D1CB0032 87500B32
	v_fma_f32 v51, v51, s5, -v212                              // 00000000764C: D1CB0033 87500B33
	v_fma_f32 v52, v52, s5, -v212                              // 000000007654: D1CB0034 87500B34
	v_fma_f32 v53, v53, s5, -v212                              // 00000000765C: D1CB0035 87500B35
	v_fma_f32 v54, v54, s5, -v212                              // 000000007664: D1CB0036 87500B36
	v_fma_f32 v55, v55, s5, -v212                              // 00000000766C: D1CB0037 87500B37
	v_fma_f32 v56, v56, s5, -v212                              // 000000007674: D1CB0038 87500B38
	v_fma_f32 v57, v57, s5, -v212                              // 00000000767C: D1CB0039 87500B39
	v_fma_f32 v58, v58, s5, -v212                              // 000000007684: D1CB003A 87500B3A
	v_fma_f32 v59, v59, s5, -v212                              // 00000000768C: D1CB003B 87500B3B
	v_mov_b32_e32 v35, 0xffc00000                              // 000000007694: 7E4602FF FFC00000
	v_exp_f32_e32 v44, v44                                     // 00000000769C: 7E58412C
	v_exp_f32_e32 v45, v45                                     // 0000000076A0: 7E5A412D
	v_exp_f32_e32 v46, v46                                     // 0000000076A4: 7E5C412E
	v_exp_f32_e32 v47, v47                                     // 0000000076A8: 7E5E412F
	v_exp_f32_e32 v48, v48                                     // 0000000076AC: 7E604130
	v_exp_f32_e32 v49, v49                                     // 0000000076B0: 7E624131
	v_exp_f32_e32 v50, v50                                     // 0000000076B4: 7E644132
	v_exp_f32_e32 v51, v51                                     // 0000000076B8: 7E664133
	v_exp_f32_e32 v52, v52                                     // 0000000076BC: 7E684134
	v_exp_f32_e32 v53, v53                                     // 0000000076C0: 7E6A4135
	v_exp_f32_e32 v54, v54                                     // 0000000076C4: 7E6C4136
	v_exp_f32_e32 v55, v55                                     // 0000000076C8: 7E6E4137
	v_exp_f32_e32 v56, v56                                     // 0000000076CC: 7E704138
	v_exp_f32_e32 v57, v57                                     // 0000000076D0: 7E724139
	v_exp_f32_e32 v58, v58                                     // 0000000076D4: 7E74413A
	v_exp_f32_e32 v59, v59                                     // 0000000076D8: 7E76413B
	v_mul_f32_e32 v4, v21, v4                                  // 0000000076DC: 0A080915
	v_mov_b32_e32 v35, v44                                     // 0000000076E0: 7E46032C
	v_add_f32_e32 v35, v45, v35                                // 0000000076E4: 0246472D
	v_add_f32_e32 v35, v46, v35                                // 0000000076E8: 0246472E
	v_add_f32_e32 v35, v47, v35                                // 0000000076EC: 0246472F
	v_add_f32_e32 v35, v48, v35                                // 0000000076F0: 02464730
	v_add_f32_e32 v35, v49, v35                                // 0000000076F4: 02464731
	v_add_f32_e32 v35, v50, v35                                // 0000000076F8: 02464732
	v_add_f32_e32 v35, v51, v35                                // 0000000076FC: 02464733
	v_add_f32_e32 v35, v52, v35                                // 000000007700: 02464734
	v_add_f32_e32 v35, v53, v35                                // 000000007704: 02464735
	;; [unrolled: 1-line block ×3, first 2 shown]
	v_add_f32_e32 v35, v55, v35                                // 00000000770C: 02464737
	v_add_f32_e32 v35, v56, v35                                // 000000007710: 02464738
	v_add_f32_e32 v35, v57, v35                                // 000000007714: 02464739
	v_add_f32_e32 v35, v58, v35                                // 000000007718: 0246473A
	v_add_f32_e32 v35, v59, v35                                // 00000000771C: 0246473B
	v_add_f32_e32 v4, v35, v4                                  // 000000007720: 02080923
	v_cvt_pk_fp8_f32 v44, v44, v45                             // 000000007724: D2A2002C 00025B2C
	v_cvt_pk_fp8_f32 v44, v46, v47 op_sel:[0,0,1]              // 00000000772C: D2A2402C 00025F2E
	v_cvt_pk_fp8_f32 v45, v48, v49                             // 000000007734: D2A2002D 00026330
	v_cvt_pk_fp8_f32 v45, v50, v51 op_sel:[0,0,1]              // 00000000773C: D2A2402D 00026732
	v_cvt_pk_fp8_f32 v46, v52, v53                             // 000000007744: D2A2002E 00026B34
	v_cvt_pk_fp8_f32 v46, v54, v55 op_sel:[0,0,1]              // 00000000774C: D2A2402E 00026F36
	v_cvt_pk_fp8_f32 v47, v56, v57                             // 000000007754: D2A2002F 00027338
	v_cvt_pk_fp8_f32 v47, v58, v59 op_sel:[0,0,1]              // 00000000775C: D2A2402F 0002773A
	ds_write_b128 v43, v[44:47] offset:1024                    // 000000007764: D9BE0400 00002C2B
	s_waitcnt lgkmcnt(0)                                       // 00000000776C: BF8CC07F
	s_barrier                                                  // 000000007770: BF8A0000
	ds_read_b128 v[44:47], v42 offset:1024                     // 000000007774: D9FE0400 2C00002A
	ds_read_b128 v[48:51], v42 offset:2048                     // 00000000777C: D9FE0800 3000002A
	s_waitcnt lgkmcnt(0)                                       // 000000007784: BF8CC07F
	v_permlane32_swap_b32_e32 v44, v46                         // 000000007788: 7E58B52E
	v_permlane32_swap_b32_e32 v45, v47                         // 00000000778C: 7E5AB52F
	v_swap_b32 v45, v46                                        // 000000007790: 7E5AA32E
	v_permlane32_swap_b32_e32 v48, v50                         // 000000007794: 7E60B532
	v_permlane32_swap_b32_e32 v49, v51                         // 000000007798: 7E62B533
	v_swap_b32 v49, v50                                        // 00000000779C: 7E62A332
	ds_read_b64_tr_b8 a[72:73], v5                             // 0000000077A0: DBC40000 48000005
	ds_read_b64_tr_b8 a[74:75], v6                             // 0000000077A8: DBC40000 4A000006
	ds_read_b64_tr_b8 a[76:77], v5 offset:18432                // 0000000077B0: DBC44800 4C000005
	ds_read_b64_tr_b8 a[78:79], v6 offset:18432                // 0000000077B8: DBC44800 4E000006
	ds_read_b64_tr_b8 a[80:81], v7                             // 0000000077C0: DBC40000 50000007
	ds_read_b64_tr_b8 a[82:83], v8                             // 0000000077C8: DBC40000 52000008
	ds_read_b64_tr_b8 a[84:85], v7 offset:18432                // 0000000077D0: DBC44800 54000007
	ds_read_b64_tr_b8 a[86:87], v8 offset:18432                // 0000000077D8: DBC44800 56000008
	ds_read_b64_tr_b8 a[88:89], v5 offset:1024                 // 0000000077E0: DBC40400 58000005
	ds_read_b64_tr_b8 a[90:91], v6 offset:1024                 // 0000000077E8: DBC40400 5A000006
	ds_read_b64_tr_b8 a[92:93], v5 offset:19456                // 0000000077F0: DBC44C00 5C000005
	ds_read_b64_tr_b8 a[94:95], v6 offset:19456                // 0000000077F8: DBC44C00 5E000006
	ds_read_b64_tr_b8 a[96:97], v7 offset:1024                 // 000000007800: DBC40400 60000007
	ds_read_b64_tr_b8 a[98:99], v8 offset:1024                 // 000000007808: DBC40400 62000008
	ds_read_b64_tr_b8 a[100:101], v7 offset:19456              // 000000007810: DBC44C00 64000007
	ds_read_b64_tr_b8 a[102:103], v8 offset:19456              // 000000007818: DBC44C00 66000008
	ds_read_b64_tr_b8 a[104:105], v5 offset:2048               // 000000007820: DBC40800 68000005
	ds_read_b64_tr_b8 a[106:107], v6 offset:2048               // 000000007828: DBC40800 6A000006
	ds_read_b64_tr_b8 a[108:109], v5 offset:20480              // 000000007830: DBC45000 6C000005
	ds_read_b64_tr_b8 a[110:111], v6 offset:20480              // 000000007838: DBC45000 6E000006
	ds_read_b64_tr_b8 a[112:113], v7 offset:2048               // 000000007840: DBC40800 70000007
	ds_read_b64_tr_b8 a[114:115], v8 offset:2048               // 000000007848: DBC40800 72000008
	ds_read_b64_tr_b8 a[116:117], v7 offset:20480              // 000000007850: DBC45000 74000007
	ds_read_b64_tr_b8 a[118:119], v8 offset:20480              // 000000007858: DBC45000 76000008
	ds_read_b64_tr_b8 a[120:121], v5 offset:3072               // 000000007860: DBC40C00 78000005
	ds_read_b64_tr_b8 a[122:123], v6 offset:3072               // 000000007868: DBC40C00 7A000006
	ds_read_b64_tr_b8 a[124:125], v5 offset:21504              // 000000007870: DBC45400 7C000005
	ds_read_b64_tr_b8 a[126:127], v6 offset:21504              // 000000007878: DBC45400 7E000006
	ds_read_b64_tr_b8 a[128:129], v7 offset:3072               // 000000007880: DBC40C00 80000007
	ds_read_b64_tr_b8 a[130:131], v8 offset:3072               // 000000007888: DBC40C00 82000008
	ds_read_b64_tr_b8 a[132:133], v7 offset:21504              // 000000007890: DBC45400 84000007
	ds_read_b64_tr_b8 a[134:135], v8 offset:21504              // 000000007898: DBC45400 86000008
	s_waitcnt lgkmcnt(4)                                       // 0000000078A0: BF8CC47F
	v_mfma_f32_32x32x64_f8f6f4 v[76:91], a[72:79], v[60:67], v[76:91]// 0000000078A4: D3AE004C 0D327948
	ds_read_b64_tr_b8 a[72:73], v9                             // 0000000078AC: DBC40000 48000009
	ds_read_b64_tr_b8 a[74:75], v10                            // 0000000078B4: DBC40000 4A00000A
	ds_read_b64_tr_b8 a[76:77], v9 offset:18432                // 0000000078BC: DBC44800 4C000009
	ds_read_b64_tr_b8 a[78:79], v10 offset:18432               // 0000000078C4: DBC44800 4E00000A
	v_mfma_f32_32x32x64_f8f6f4 v[92:107], a[80:87], v[60:67], v[92:107]// 0000000078CC: D3AE005C 0D727950
	ds_read_b64_tr_b8 a[80:81], v11                            // 0000000078D4: DBC40000 5000000B
	ds_read_b64_tr_b8 a[82:83], v12                            // 0000000078DC: DBC40000 5200000C
	ds_read_b64_tr_b8 a[84:85], v11 offset:18432               // 0000000078E4: DBC44800 5400000B
	ds_read_b64_tr_b8 a[86:87], v12 offset:18432               // 0000000078EC: DBC44800 5600000C
	v_mfma_f32_32x32x64_f8f6f4 v[108:123], a[88:95], v[60:67], v[108:123]// 0000000078F4: D3AE006C 0DB27958
	ds_read_b64_tr_b8 a[88:89], v9 offset:1024                 // 0000000078FC: DBC40400 58000009
	ds_read_b64_tr_b8 a[90:91], v10 offset:1024                // 000000007904: DBC40400 5A00000A
	ds_read_b64_tr_b8 a[92:93], v9 offset:19456                // 00000000790C: DBC44C00 5C000009
	ds_read_b64_tr_b8 a[94:95], v10 offset:19456               // 000000007914: DBC44C00 5E00000A
	v_mfma_f32_32x32x64_f8f6f4 v[124:139], a[96:103], v[60:67], v[124:139]// 00000000791C: D3AE007C 0DF27960
	ds_read_b64_tr_b8 a[96:97], v11 offset:1024                // 000000007924: DBC40400 6000000B
	ds_read_b64_tr_b8 a[98:99], v12 offset:1024                // 00000000792C: DBC40400 6200000C
	ds_read_b64_tr_b8 a[100:101], v11 offset:19456             // 000000007934: DBC44C00 6400000B
	ds_read_b64_tr_b8 a[102:103], v12 offset:19456             // 00000000793C: DBC44C00 6600000C
	v_mfma_f32_32x32x64_f8f6f4 v[140:155], a[104:111], v[60:67], v[140:155]// 000000007944: D3AE008C 0E327968
	ds_read_b64_tr_b8 a[104:105], v9 offset:2048               // 00000000794C: DBC40800 68000009
	ds_read_b64_tr_b8 a[106:107], v10 offset:2048              // 000000007954: DBC40800 6A00000A
	ds_read_b64_tr_b8 a[108:109], v9 offset:20480              // 00000000795C: DBC45000 6C000009
	ds_read_b64_tr_b8 a[110:111], v10 offset:20480             // 000000007964: DBC45000 6E00000A
	v_mfma_f32_32x32x64_f8f6f4 v[156:171], a[112:119], v[60:67], v[156:171]// 00000000796C: D3AE009C 0E727970
	ds_read_b64_tr_b8 a[112:113], v11 offset:2048              // 000000007974: DBC40800 7000000B
	ds_read_b64_tr_b8 a[114:115], v12 offset:2048              // 00000000797C: DBC40800 7200000C
	ds_read_b64_tr_b8 a[116:117], v11 offset:20480             // 000000007984: DBC45000 7400000B
	ds_read_b64_tr_b8 a[118:119], v12 offset:20480             // 00000000798C: DBC45000 7600000C
	v_mfma_f32_32x32x64_f8f6f4 v[172:187], a[120:127], v[60:67], v[172:187]// 000000007994: D3AE00AC 0EB27978
	ds_read_b64_tr_b8 a[120:121], v9 offset:3072               // 00000000799C: DBC40C00 78000009
	ds_read_b64_tr_b8 a[122:123], v10 offset:3072              // 0000000079A4: DBC40C00 7A00000A
	ds_read_b64_tr_b8 a[124:125], v9 offset:21504              // 0000000079AC: DBC45400 7C000009
	ds_read_b64_tr_b8 a[126:127], v10 offset:21504             // 0000000079B4: DBC45400 7E00000A
	v_mfma_f32_32x32x64_f8f6f4 v[188:203], a[128:135], v[60:67], v[188:203]// 0000000079BC: D3AE00BC 0EF27980
	ds_read_b64_tr_b8 a[128:129], v11 offset:3072              // 0000000079C4: DBC40C00 8000000B
	ds_read_b64_tr_b8 a[130:131], v12 offset:3072              // 0000000079CC: DBC40C00 8200000C
	ds_read_b64_tr_b8 a[132:133], v11 offset:21504             // 0000000079D4: DBC45400 8400000B
	ds_read_b64_tr_b8 a[134:135], v12 offset:21504             // 0000000079DC: DBC45400 8600000C
	v_mov_b32_e32 v36, v21                                     // 0000000079E4: 7E480315
	v_mov_b32_e32 v37, v21                                     // 0000000079E8: 7E4A0315
	v_pk_mul_f32 v[76:77], v[36:37], v[76:77]                  // 0000000079EC: D3B1404C 18029924
	v_pk_mul_f32 v[78:79], v[36:37], v[78:79]                  // 0000000079F4: D3B1404E 18029D24
	v_pk_mul_f32 v[80:81], v[36:37], v[80:81]                  // 0000000079FC: D3B14050 1802A124
	v_pk_mul_f32 v[82:83], v[36:37], v[82:83]                  // 000000007A04: D3B14052 1802A524
	v_pk_mul_f32 v[84:85], v[36:37], v[84:85]                  // 000000007A0C: D3B14054 1802A924
	v_pk_mul_f32 v[86:87], v[36:37], v[86:87]                  // 000000007A14: D3B14056 1802AD24
	v_pk_mul_f32 v[88:89], v[36:37], v[88:89]                  // 000000007A1C: D3B14058 1802B124
	v_pk_mul_f32 v[90:91], v[36:37], v[90:91]                  // 000000007A24: D3B1405A 1802B524
	v_pk_mul_f32 v[92:93], v[36:37], v[92:93]                  // 000000007A2C: D3B1405C 1802B924
	v_pk_mul_f32 v[94:95], v[36:37], v[94:95]                  // 000000007A34: D3B1405E 1802BD24
	v_pk_mul_f32 v[96:97], v[36:37], v[96:97]                  // 000000007A3C: D3B14060 1802C124
	v_pk_mul_f32 v[98:99], v[36:37], v[98:99]                  // 000000007A44: D3B14062 1802C524
	v_pk_mul_f32 v[100:101], v[36:37], v[100:101]              // 000000007A4C: D3B14064 1802C924
	v_pk_mul_f32 v[102:103], v[36:37], v[102:103]              // 000000007A54: D3B14066 1802CD24
	v_pk_mul_f32 v[104:105], v[36:37], v[104:105]              // 000000007A5C: D3B14068 1802D124
	v_pk_mul_f32 v[106:107], v[36:37], v[106:107]              // 000000007A64: D3B1406A 1802D524
	v_pk_mul_f32 v[108:109], v[36:37], v[108:109]              // 000000007A6C: D3B1406C 1802D924
	v_pk_mul_f32 v[110:111], v[36:37], v[110:111]              // 000000007A74: D3B1406E 1802DD24
	v_pk_mul_f32 v[112:113], v[36:37], v[112:113]              // 000000007A7C: D3B14070 1802E124
	v_pk_mul_f32 v[114:115], v[36:37], v[114:115]              // 000000007A84: D3B14072 1802E524
	v_pk_mul_f32 v[116:117], v[36:37], v[116:117]              // 000000007A8C: D3B14074 1802E924
	v_pk_mul_f32 v[118:119], v[36:37], v[118:119]              // 000000007A94: D3B14076 1802ED24
	v_pk_mul_f32 v[120:121], v[36:37], v[120:121]              // 000000007A9C: D3B14078 1802F124
	v_pk_mul_f32 v[122:123], v[36:37], v[122:123]              // 000000007AA4: D3B1407A 1802F524
	v_pk_mul_f32 v[124:125], v[36:37], v[124:125]              // 000000007AAC: D3B1407C 1802F924
	v_pk_mul_f32 v[126:127], v[36:37], v[126:127]              // 000000007AB4: D3B1407E 1802FD24
	v_pk_mul_f32 v[128:129], v[36:37], v[128:129]              // 000000007ABC: D3B14080 18030124
	v_pk_mul_f32 v[130:131], v[36:37], v[130:131]              // 000000007AC4: D3B14082 18030524
	v_pk_mul_f32 v[132:133], v[36:37], v[132:133]              // 000000007ACC: D3B14084 18030924
	v_pk_mul_f32 v[134:135], v[36:37], v[134:135]              // 000000007AD4: D3B14086 18030D24
	v_pk_mul_f32 v[136:137], v[36:37], v[136:137]              // 000000007ADC: D3B14088 18031124
	v_pk_mul_f32 v[138:139], v[36:37], v[138:139]              // 000000007AE4: D3B1408A 18031524
	v_pk_mul_f32 v[140:141], v[36:37], v[140:141]              // 000000007AEC: D3B1408C 18031924
	v_pk_mul_f32 v[142:143], v[36:37], v[142:143]              // 000000007AF4: D3B1408E 18031D24
	v_pk_mul_f32 v[144:145], v[36:37], v[144:145]              // 000000007AFC: D3B14090 18032124
	v_pk_mul_f32 v[146:147], v[36:37], v[146:147]              // 000000007B04: D3B14092 18032524
	v_pk_mul_f32 v[148:149], v[36:37], v[148:149]              // 000000007B0C: D3B14094 18032924
	v_pk_mul_f32 v[150:151], v[36:37], v[150:151]              // 000000007B14: D3B14096 18032D24
	v_pk_mul_f32 v[152:153], v[36:37], v[152:153]              // 000000007B1C: D3B14098 18033124
	v_pk_mul_f32 v[154:155], v[36:37], v[154:155]              // 000000007B24: D3B1409A 18033524
	v_pk_mul_f32 v[156:157], v[36:37], v[156:157]              // 000000007B2C: D3B1409C 18033924
	v_pk_mul_f32 v[158:159], v[36:37], v[158:159]              // 000000007B34: D3B1409E 18033D24
	v_pk_mul_f32 v[160:161], v[36:37], v[160:161]              // 000000007B3C: D3B140A0 18034124
	v_pk_mul_f32 v[162:163], v[36:37], v[162:163]              // 000000007B44: D3B140A2 18034524
	v_pk_mul_f32 v[164:165], v[36:37], v[164:165]              // 000000007B4C: D3B140A4 18034924
	v_pk_mul_f32 v[166:167], v[36:37], v[166:167]              // 000000007B54: D3B140A6 18034D24
	v_pk_mul_f32 v[168:169], v[36:37], v[168:169]              // 000000007B5C: D3B140A8 18035124
	v_pk_mul_f32 v[170:171], v[36:37], v[170:171]              // 000000007B64: D3B140AA 18035524
	v_pk_mul_f32 v[172:173], v[36:37], v[172:173]              // 000000007B6C: D3B140AC 18035924
	v_pk_mul_f32 v[174:175], v[36:37], v[174:175]              // 000000007B74: D3B140AE 18035D24
	v_pk_mul_f32 v[176:177], v[36:37], v[176:177]              // 000000007B7C: D3B140B0 18036124
	v_pk_mul_f32 v[178:179], v[36:37], v[178:179]              // 000000007B84: D3B140B2 18036524
	v_pk_mul_f32 v[180:181], v[36:37], v[180:181]              // 000000007B8C: D3B140B4 18036924
	v_pk_mul_f32 v[182:183], v[36:37], v[182:183]              // 000000007B94: D3B140B6 18036D24
	v_pk_mul_f32 v[184:185], v[36:37], v[184:185]              // 000000007B9C: D3B140B8 18037124
	v_pk_mul_f32 v[186:187], v[36:37], v[186:187]              // 000000007BA4: D3B140BA 18037524
	v_pk_mul_f32 v[188:189], v[36:37], v[188:189]              // 000000007BAC: D3B140BC 18037924
	v_pk_mul_f32 v[190:191], v[36:37], v[190:191]              // 000000007BB4: D3B140BE 18037D24
	v_pk_mul_f32 v[192:193], v[36:37], v[192:193]              // 000000007BBC: D3B140C0 18038124
	v_pk_mul_f32 v[194:195], v[36:37], v[194:195]              // 000000007BC4: D3B140C2 18038524
	v_pk_mul_f32 v[196:197], v[36:37], v[196:197]              // 000000007BCC: D3B140C4 18038924
	v_pk_mul_f32 v[198:199], v[36:37], v[198:199]              // 000000007BD4: D3B140C6 18038D24
	v_pk_mul_f32 v[200:201], v[36:37], v[200:201]              // 000000007BDC: D3B140C8 18039124
	v_pk_mul_f32 v[202:203], v[36:37], v[202:203]              // 000000007BE4: D3B140CA 18039524
	s_waitcnt vmcnt(0)                                         // 000000007BEC: BF8C0F70
	s_barrier                                                  // 000000007BF0: BF8A0000
	v_mfma_f32_32x32x64_f8f6f4 v[76:91], a[72:79], v[44:51], v[76:91]// 000000007BF4: D3AE004C 0D325948
	ds_read_b128 a[72:75], v26                                 // 000000007BFC: DBFE0000 4800001A
	ds_read_b128 a[76:79], v27                                 // 000000007C04: DBFE0000 4C00001B
	v_mfma_f32_32x32x64_f8f6f4 v[92:107], a[80:87], v[44:51], v[92:107]// 000000007C0C: D3AE005C 0D725950
	ds_read_b128 a[80:83], v26 offset:1024                     // 000000007C14: DBFE0400 5000001A
	ds_read_b128 a[84:87], v27 offset:1024                     // 000000007C1C: DBFE0400 5400001B
	v_mfma_f32_32x32x64_f8f6f4 v[108:123], a[88:95], v[44:51], v[108:123]// 000000007C24: D3AE006C 0DB25958
	ds_read_b128 a[88:91], v26 offset:2048                     // 000000007C2C: DBFE0800 5800001A
	ds_read_b128 a[92:95], v27 offset:2048                     // 000000007C34: DBFE0800 5C00001B
	v_mfma_f32_32x32x64_f8f6f4 v[124:139], a[96:103], v[44:51], v[124:139]// 000000007C3C: D3AE007C 0DF25960
	ds_read_b128 a[96:99], v26 offset:3072                     // 000000007C44: DBFE0C00 6000001A
	ds_read_b128 a[100:103], v27 offset:3072                   // 000000007C4C: DBFE0C00 6400001B
	v_mfma_f32_32x32x64_f8f6f4 v[140:155], a[104:111], v[44:51], v[140:155]// 000000007C54: D3AE008C 0E325968
	ds_read_b128 a[104:107], v26 offset:4096                   // 000000007C5C: DBFE1000 6800001A
	ds_read_b128 a[108:111], v27 offset:4096                   // 000000007C64: DBFE1000 6C00001B
	v_mfma_f32_32x32x64_f8f6f4 v[156:171], a[112:119], v[44:51], v[156:171]// 000000007C6C: D3AE009C 0E725970
	ds_read_b128 a[112:115], v26 offset:5120                   // 000000007C74: DBFE1400 7000001A
	ds_read_b128 a[116:119], v27 offset:5120                   // 000000007C7C: DBFE1400 7400001B
	v_mfma_f32_32x32x64_f8f6f4 v[172:187], a[120:127], v[44:51], v[172:187]// 000000007C84: D3AE00AC 0EB25978
	ds_read_b128 a[120:123], v26 offset:6144                   // 000000007C8C: DBFE1800 7800001A
	ds_read_b128 a[124:127], v27 offset:6144                   // 000000007C94: DBFE1800 7C00001B
	v_mfma_f32_32x32x64_f8f6f4 v[188:203], a[128:135], v[44:51], v[188:203]// 000000007C9C: D3AE00BC 0EF25980
	ds_read_b128 a[128:131], v26 offset:7168                   // 000000007CA4: DBFE1C00 8000001A
	ds_read_b128 a[132:135], v27 offset:7168                   // 000000007CAC: DBFE1C00 8400001B
	ds_read_b128 a[136:139], v26 offset:8192                   // 000000007CB4: DBFE2000 8800001A
	ds_read_b128 a[140:143], v27 offset:8192                   // 000000007CBC: DBFE2000 8C00001B
	s_branch label_7600                                        // 000000007CC4: BF82070E

0000000000007cc8 <label_59C8>:
	s_mov_b32 s56, 64                                          // 000000007CC8: BEB800C0
	s_mul_i32 s83, s56, s71                                    // 000000007CCC: 92534738
	s_cmp_le_i32 s83, s82                                      // 000000007CD0: BF055253
	s_cbranch_scc1 label_5BBC                                  // 000000007CD4: BF850079
	s_mov_b32 s36, 0xffff0000                                  // 000000007CD8: BEA400FF FFFF0000
	s_mov_b32 s37, 0xffff0000                                  // 000000007CE0: BEA500FF FFFF0000
	v_mov_b32_e32 v36, s82                                     // 000000007CE8: 7E480252
	s_add_i32 s56, s82, 1                                      // 000000007CEC: 81388152
	v_mov_b32_e32 v37, s56                                     // 000000007CF0: 7E4A0238
	v_cndmask_b32_e64 v35, v36, v37, s[36:37]                  // 000000007CF4: D1000023 00924B24
	s_and_b32 s56, 2, s7                                       // 000000007CFC: 86380782
	v_add_i32 v35, s56, v35                                    // 000000007D00: D29C0023 00024638
	s_sub_u32 s56, s83, 64                                     // 000000007D08: 80B8C053
	v_lshrrev_b32_e32 v204, 5, v0                              // 000000007D0C: 21980085
	v_mul_i32_i24_e32 v204, 4, v204                            // 000000007D10: 0D999884
	v_add_u32_e32 v204, s56, v204                              // 000000007D14: 69999838
	s_and_b32 s56, s7, 1                                       // 000000007D18: 86388107
	s_mov_b32 s57, 32                                          // 000000007D1C: BEB900A0
	s_mul_i32 s56, s57, s56                                    // 000000007D20: 92383839
	v_add_u32_e32 v204, s56, v204                              // 000000007D24: 69999838
	v_add_u32_e32 v205, 1, v204                                // 000000007D28: 699B9881
	v_add_u32_e32 v206, 2, v204                                // 000000007D2C: 699D9882
	v_add_u32_e32 v207, 3, v204                                // 000000007D30: 699F9883
	v_mov_b32_e32 v37, 0xff800000                              // 000000007D34: 7E4A02FF FF800000
	v_cmp_le_i32_e64 s[36:37], v204, v35                       // 000000007D3C: D0C30024 000247CC
	s_nop 0                                                    // 000000007D44: BF800000
	v_cndmask_b32_e64 v60, v37, v60, s[36:37]                  // 000000007D48: D100003C 00927925
	v_add_u32_e32 v204, 8, v204                                // 000000007D50: 69999888
	v_cmp_le_i32_e64 s[36:37], v205, v35                       // 000000007D54: D0C30024 000247CD
	s_nop 0                                                    // 000000007D5C: BF800000
	v_cndmask_b32_e64 v61, v37, v61, s[36:37]                  // 000000007D60: D100003D 00927B25
	v_add_u32_e32 v205, 8, v205                                // 000000007D68: 699B9A88
	v_cmp_le_i32_e64 s[36:37], v206, v35                       // 000000007D6C: D0C30024 000247CE
	s_nop 0                                                    // 000000007D74: BF800000
	v_cndmask_b32_e64 v62, v37, v62, s[36:37]                  // 000000007D78: D100003E 00927D25
	v_add_u32_e32 v206, 8, v206                                // 000000007D80: 699D9C88
	v_cmp_le_i32_e64 s[36:37], v207, v35                       // 000000007D84: D0C30024 000247CF
	s_nop 0                                                    // 000000007D8C: BF800000
	v_cndmask_b32_e64 v63, v37, v63, s[36:37]                  // 000000007D90: D100003F 00927F25
	v_add_u32_e32 v207, 8, v207                                // 000000007D98: 699F9E88
	v_cmp_le_i32_e64 s[36:37], v204, v35                       // 000000007D9C: D0C30024 000247CC
	s_nop 0                                                    // 000000007DA4: BF800000
	v_cndmask_b32_e64 v64, v37, v64, s[36:37]                  // 000000007DA8: D1000040 00928125
	v_add_u32_e32 v204, 8, v204                                // 000000007DB0: 69999888
	v_cmp_le_i32_e64 s[36:37], v205, v35                       // 000000007DB4: D0C30024 000247CD
	s_nop 0                                                    // 000000007DBC: BF800000
	v_cndmask_b32_e64 v65, v37, v65, s[36:37]                  // 000000007DC0: D1000041 00928325
	v_add_u32_e32 v205, 8, v205                                // 000000007DC8: 699B9A88
	v_cmp_le_i32_e64 s[36:37], v206, v35                       // 000000007DCC: D0C30024 000247CE
	s_nop 0                                                    // 000000007DD4: BF800000
	v_cndmask_b32_e64 v66, v37, v66, s[36:37]                  // 000000007DD8: D1000042 00928525
	v_add_u32_e32 v206, 8, v206                                // 000000007DE0: 699D9C88
	v_cmp_le_i32_e64 s[36:37], v207, v35                       // 000000007DE4: D0C30024 000247CF
	s_nop 0                                                    // 000000007DEC: BF800000
	v_cndmask_b32_e64 v67, v37, v67, s[36:37]                  // 000000007DF0: D1000043 00928725
	v_add_u32_e32 v207, 8, v207                                // 000000007DF8: 699F9E88
	v_cmp_le_i32_e64 s[36:37], v204, v35                       // 000000007DFC: D0C30024 000247CC
	s_nop 0                                                    // 000000007E04: BF800000
	v_cndmask_b32_e64 v68, v37, v68, s[36:37]                  // 000000007E08: D1000044 00928925
	v_add_u32_e32 v204, 8, v204                                // 000000007E10: 69999888
	v_cmp_le_i32_e64 s[36:37], v205, v35                       // 000000007E14: D0C30024 000247CD
	s_nop 0                                                    // 000000007E1C: BF800000
	v_cndmask_b32_e64 v69, v37, v69, s[36:37]                  // 000000007E20: D1000045 00928B25
	v_add_u32_e32 v205, 8, v205                                // 000000007E28: 699B9A88
	v_cmp_le_i32_e64 s[36:37], v206, v35                       // 000000007E2C: D0C30024 000247CE
	s_nop 0                                                    // 000000007E34: BF800000
	v_cndmask_b32_e64 v70, v37, v70, s[36:37]                  // 000000007E38: D1000046 00928D25
	v_add_u32_e32 v206, 8, v206                                // 000000007E40: 699D9C88
	v_cmp_le_i32_e64 s[36:37], v207, v35                       // 000000007E44: D0C30024 000247CF
	s_nop 0                                                    // 000000007E4C: BF800000
	v_cndmask_b32_e64 v71, v37, v71, s[36:37]                  // 000000007E50: D1000047 00928F25
	v_add_u32_e32 v207, 8, v207                                // 000000007E58: 699F9E88
	v_cmp_le_i32_e64 s[36:37], v204, v35                       // 000000007E5C: D0C30024 000247CC
	s_nop 0                                                    // 000000007E64: BF800000
	v_cndmask_b32_e64 v72, v37, v72, s[36:37]                  // 000000007E68: D1000048 00929125
	v_add_u32_e32 v204, 8, v204                                // 000000007E70: 69999888
	v_cmp_le_i32_e64 s[36:37], v205, v35                       // 000000007E74: D0C30024 000247CD
	s_nop 0                                                    // 000000007E7C: BF800000
	v_cndmask_b32_e64 v73, v37, v73, s[36:37]                  // 000000007E80: D1000049 00929325
	v_add_u32_e32 v205, 8, v205                                // 000000007E88: 699B9A88
	v_cmp_le_i32_e64 s[36:37], v206, v35                       // 000000007E8C: D0C30024 000247CE
	s_nop 0                                                    // 000000007E94: BF800000
	v_cndmask_b32_e64 v74, v37, v74, s[36:37]                  // 000000007E98: D100004A 00929525
	v_add_u32_e32 v206, 8, v206                                // 000000007EA0: 699D9C88
	v_cmp_le_i32_e64 s[36:37], v207, v35                       // 000000007EA4: D0C30024 000247CF
	s_nop 0                                                    // 000000007EAC: BF800000
	v_cndmask_b32_e64 v75, v37, v75, s[36:37]                  // 000000007EB0: D100004B 00929725
	v_add_u32_e32 v207, 8, v207                                // 000000007EB8: 699F9E88

0000000000007ebc <label_5BBC>:
	s_add_u32 s83, s84, s83                                    // 000000007EBC: 80535354
	s_nop 2                                                    // 000000007EC0: BF800002
	v_mov_b32_e32 v213, v60                                    // 000000007EC4: 7FAA033C
	v_max3_f32 v213, v60, v61, v213                            // 000000007EC8: D1D300D5 07567B3C
	v_max3_f32 v213, v62, v63, v213                            // 000000007ED0: D1D300D5 07567F3E
	v_max3_f32 v213, v64, v65, v213                            // 000000007ED8: D1D300D5 07568340
	v_max3_f32 v213, v66, v67, v213                            // 000000007EE0: D1D300D5 07568742
	v_max3_f32 v213, v68, v69, v213                            // 000000007EE8: D1D300D5 07568B44
	v_max3_f32 v213, v70, v71, v213                            // 000000007EF0: D1D300D5 07568F46
	v_max3_f32 v213, v72, v73, v213                            // 000000007EF8: D1D300D5 07569348
	v_max3_f32 v213, v74, v75, v213                            // 000000007F00: D1D300D5 0756974A
	v_mov_b32_e32 v35, v213                                    // 000000007F08: 7E4603D5
	v_mov_b32_e32 v36, v213                                    // 000000007F0C: 7E4803D5
	s_nop 1                                                    // 000000007F10: BF800001
	v_permlane32_swap_b32_e32 v35, v36                         // 000000007F14: 7E46B524
	v_max3_f32 v213, v35, v36, v213                            // 000000007F18: D1D300D5 07564923
	ds_write_b32 v41, v213                                     // 000000007F20: D81A0000 0000D529
	s_waitcnt lgkmcnt(0)                                       // 000000007F28: BF8CC07F
	s_barrier                                                  // 000000007F2C: BF8A0000
	ds_read_b32 v35, v40                                       // 000000007F30: D86C0000 23000028
	ds_read_b32 v36, v40 offset:256                            // 000000007F38: D86C0100 24000028
	s_waitcnt lgkmcnt(0)                                       // 000000007F40: BF8CC07F
	v_max3_f32 v213, v35, v36, v213                            // 000000007F44: D1D300D5 07564923
	v_mov_b32_e32 v35, 0xff800000                              // 000000007F4C: 7E4602FF FF800000
	v_cmp_eq_u32_e64 s[36:37], v35, v2                         // 000000007F54: D0CA0024 00020523
	v_max_f32_e32 v216, v213, v2                               // 000000007F5C: 17B005D5
	v_sub_f32_e32 v21, v2, v216                                // 000000007F60: 042BB102
	v_cndmask_b32_e64 v21, v21, 0, s[36:37]                    // 000000007F64: D1000015 00910115
	v_mov_b32_e32 v2, v216                                     // 000000007F6C: 7E0403D8
	v_mul_f32_e32 v212, s5, v216                               // 000000007F70: 0BA9B005
	v_mul_f32_e32 v21, s5, v21                                 // 000000007F74: 0A2A2A05
	v_exp_f32_e32 v21, v21                                     // 000000007F78: 7E2A4115
	v_fma_f32 v60, v60, s5, -v212                              // 000000007F7C: D1CB003C 87500B3C
	v_fma_f32 v61, v61, s5, -v212                              // 000000007F84: D1CB003D 87500B3D
	v_fma_f32 v62, v62, s5, -v212                              // 000000007F8C: D1CB003E 87500B3E
	v_fma_f32 v63, v63, s5, -v212                              // 000000007F94: D1CB003F 87500B3F
	v_fma_f32 v64, v64, s5, -v212                              // 000000007F9C: D1CB0040 87500B40
	v_fma_f32 v65, v65, s5, -v212                              // 000000007FA4: D1CB0041 87500B41
	v_fma_f32 v66, v66, s5, -v212                              // 000000007FAC: D1CB0042 87500B42
	v_fma_f32 v67, v67, s5, -v212                              // 000000007FB4: D1CB0043 87500B43
	v_fma_f32 v68, v68, s5, -v212                              // 000000007FBC: D1CB0044 87500B44
	v_fma_f32 v69, v69, s5, -v212                              // 000000007FC4: D1CB0045 87500B45
	v_fma_f32 v70, v70, s5, -v212                              // 000000007FCC: D1CB0046 87500B46
	v_fma_f32 v71, v71, s5, -v212                              // 000000007FD4: D1CB0047 87500B47
	v_fma_f32 v72, v72, s5, -v212                              // 000000007FDC: D1CB0048 87500B48
	v_fma_f32 v73, v73, s5, -v212                              // 000000007FE4: D1CB0049 87500B49
	v_fma_f32 v74, v74, s5, -v212                              // 000000007FEC: D1CB004A 87500B4A
	v_fma_f32 v75, v75, s5, -v212                              // 000000007FF4: D1CB004B 87500B4B
	v_mov_b32_e32 v35, 0xffc00000                              // 000000007FFC: 7E4602FF FFC00000
	v_exp_f32_e32 v60, v60                                     // 000000008004: 7E78413C
	v_exp_f32_e32 v61, v61                                     // 000000008008: 7E7A413D
	v_exp_f32_e32 v62, v62                                     // 00000000800C: 7E7C413E
	v_exp_f32_e32 v63, v63                                     // 000000008010: 7E7E413F
	v_exp_f32_e32 v64, v64                                     // 000000008014: 7E804140
	v_exp_f32_e32 v65, v65                                     // 000000008018: 7E824141
	v_exp_f32_e32 v66, v66                                     // 00000000801C: 7E844142
	v_exp_f32_e32 v67, v67                                     // 000000008020: 7E864143
	v_exp_f32_e32 v68, v68                                     // 000000008024: 7E884144
	v_exp_f32_e32 v69, v69                                     // 000000008028: 7E8A4145
	v_exp_f32_e32 v70, v70                                     // 00000000802C: 7E8C4146
	v_exp_f32_e32 v71, v71                                     // 000000008030: 7E8E4147
	v_exp_f32_e32 v72, v72                                     // 000000008034: 7E904148
	v_exp_f32_e32 v73, v73                                     // 000000008038: 7E924149
	v_exp_f32_e32 v74, v74                                     // 00000000803C: 7E94414A
	v_exp_f32_e32 v75, v75                                     // 000000008040: 7E96414B
	v_mul_f32_e32 v4, v21, v4                                  // 000000008044: 0A080915
	v_mov_b32_e32 v35, v60                                     // 000000008048: 7E46033C
	v_add_f32_e32 v35, v61, v35                                // 00000000804C: 0246473D
	v_add_f32_e32 v35, v62, v35                                // 000000008050: 0246473E
	v_add_f32_e32 v35, v63, v35                                // 000000008054: 0246473F
	v_add_f32_e32 v35, v64, v35                                // 000000008058: 02464740
	v_add_f32_e32 v35, v65, v35                                // 00000000805C: 02464741
	v_add_f32_e32 v35, v66, v35                                // 000000008060: 02464742
	v_add_f32_e32 v35, v67, v35                                // 000000008064: 02464743
	;; [unrolled: 1-line block ×3, first 2 shown]
	v_add_f32_e32 v35, v69, v35                                // 00000000806C: 02464745
	v_add_f32_e32 v35, v70, v35                                // 000000008070: 02464746
	v_add_f32_e32 v35, v71, v35                                // 000000008074: 02464747
	;; [unrolled: 1-line block ×3, first 2 shown]
	v_add_f32_e32 v35, v73, v35                                // 00000000807C: 02464749
	v_add_f32_e32 v35, v74, v35                                // 000000008080: 0246474A
	v_add_f32_e32 v35, v75, v35                                // 000000008084: 0246474B
	v_add_f32_e32 v4, v35, v4                                  // 000000008088: 02080923
	v_cvt_pk_fp8_f32 v60, v60, v61                             // 00000000808C: D2A2003C 00027B3C
	v_cvt_pk_fp8_f32 v60, v62, v63 op_sel:[0,0,1]              // 000000008094: D2A2403C 00027F3E
	v_cvt_pk_fp8_f32 v61, v64, v65                             // 00000000809C: D2A2003D 00028340
	v_cvt_pk_fp8_f32 v61, v66, v67 op_sel:[0,0,1]              // 0000000080A4: D2A2403D 00028742
	v_cvt_pk_fp8_f32 v62, v68, v69                             // 0000000080AC: D2A2003E 00028B44
	v_cvt_pk_fp8_f32 v62, v70, v71 op_sel:[0,0,1]              // 0000000080B4: D2A2403E 00028F46
	v_cvt_pk_fp8_f32 v63, v72, v73                             // 0000000080BC: D2A2003F 00029348
	v_cvt_pk_fp8_f32 v63, v74, v75 op_sel:[0,0,1]              // 0000000080C4: D2A2403F 0002974A
	ds_write_b128 v43, v[60:63] offset:1024                    // 0000000080CC: D9BE0400 00003C2B
	s_waitcnt lgkmcnt(0)                                       // 0000000080D4: BF8CC07F
	s_barrier                                                  // 0000000080D8: BF8A0000
	ds_read_b128 v[60:63], v42 offset:1024                     // 0000000080DC: D9FE0400 3C00002A
	ds_read_b128 v[64:67], v42 offset:2048                     // 0000000080E4: D9FE0800 4000002A
	s_waitcnt lgkmcnt(0)                                       // 0000000080EC: BF8CC07F
	v_permlane32_swap_b32_e32 v60, v62                         // 0000000080F0: 7E78B53E
	v_permlane32_swap_b32_e32 v61, v63                         // 0000000080F4: 7E7AB53F
	v_swap_b32 v61, v62                                        // 0000000080F8: 7E7AA33E
	v_permlane32_swap_b32_e32 v64, v66                         // 0000000080FC: 7E80B542
	v_permlane32_swap_b32_e32 v65, v67                         // 000000008100: 7E82B543
	v_swap_b32 v65, v66                                        // 000000008104: 7E82A342
	ds_read_b64_tr_b8 a[72:73], v9                             // 000000008108: DBC40000 48000009
	ds_read_b64_tr_b8 a[74:75], v10                            // 000000008110: DBC40000 4A00000A
	ds_read_b64_tr_b8 a[76:77], v9 offset:18432                // 000000008118: DBC44800 4C000009
	ds_read_b64_tr_b8 a[78:79], v10 offset:18432               // 000000008120: DBC44800 4E00000A
	ds_read_b64_tr_b8 a[80:81], v11                            // 000000008128: DBC40000 5000000B
	ds_read_b64_tr_b8 a[82:83], v12                            // 000000008130: DBC40000 5200000C
	ds_read_b64_tr_b8 a[84:85], v11 offset:18432               // 000000008138: DBC44800 5400000B
	ds_read_b64_tr_b8 a[86:87], v12 offset:18432               // 000000008140: DBC44800 5600000C
	ds_read_b64_tr_b8 a[88:89], v9 offset:1024                 // 000000008148: DBC40400 58000009
	ds_read_b64_tr_b8 a[90:91], v10 offset:1024                // 000000008150: DBC40400 5A00000A
	ds_read_b64_tr_b8 a[92:93], v9 offset:19456                // 000000008158: DBC44C00 5C000009
	ds_read_b64_tr_b8 a[94:95], v10 offset:19456               // 000000008160: DBC44C00 5E00000A
	ds_read_b64_tr_b8 a[96:97], v11 offset:1024                // 000000008168: DBC40400 6000000B
	ds_read_b64_tr_b8 a[98:99], v12 offset:1024                // 000000008170: DBC40400 6200000C
	ds_read_b64_tr_b8 a[100:101], v11 offset:19456             // 000000008178: DBC44C00 6400000B
	ds_read_b64_tr_b8 a[102:103], v12 offset:19456             // 000000008180: DBC44C00 6600000C
	ds_read_b64_tr_b8 a[104:105], v9 offset:2048               // 000000008188: DBC40800 68000009
	ds_read_b64_tr_b8 a[106:107], v10 offset:2048              // 000000008190: DBC40800 6A00000A
	ds_read_b64_tr_b8 a[108:109], v9 offset:20480              // 000000008198: DBC45000 6C000009
	ds_read_b64_tr_b8 a[110:111], v10 offset:20480             // 0000000081A0: DBC45000 6E00000A
	ds_read_b64_tr_b8 a[112:113], v11 offset:2048              // 0000000081A8: DBC40800 7000000B
	ds_read_b64_tr_b8 a[114:115], v12 offset:2048              // 0000000081B0: DBC40800 7200000C
	ds_read_b64_tr_b8 a[116:117], v11 offset:20480             // 0000000081B8: DBC45000 7400000B
	ds_read_b64_tr_b8 a[118:119], v12 offset:20480             // 0000000081C0: DBC45000 7600000C
	ds_read_b64_tr_b8 a[120:121], v9 offset:3072               // 0000000081C8: DBC40C00 78000009
	ds_read_b64_tr_b8 a[122:123], v10 offset:3072              // 0000000081D0: DBC40C00 7A00000A
	ds_read_b64_tr_b8 a[124:125], v9 offset:21504              // 0000000081D8: DBC45400 7C000009
	ds_read_b64_tr_b8 a[126:127], v10 offset:21504             // 0000000081E0: DBC45400 7E00000A
	ds_read_b64_tr_b8 a[128:129], v11 offset:3072              // 0000000081E8: DBC40C00 8000000B
	ds_read_b64_tr_b8 a[130:131], v12 offset:3072              // 0000000081F0: DBC40C00 8200000C
	ds_read_b64_tr_b8 a[132:133], v11 offset:21504             // 0000000081F8: DBC45400 8400000B
	ds_read_b64_tr_b8 a[134:135], v12 offset:21504             // 000000008200: DBC45400 8600000C
	s_waitcnt lgkmcnt(4)                                       // 000000008208: BF8CC47F
	v_mfma_f32_32x32x64_f8f6f4 v[76:91], a[72:79], v[44:51], v[76:91]// 00000000820C: D3AE004C 0D325948
	ds_read_b64_tr_b8 a[72:73], v13                            // 000000008214: DBC40000 4800000D
	ds_read_b64_tr_b8 a[74:75], v14                            // 00000000821C: DBC40000 4A00000E
	ds_read_b64_tr_b8 a[76:77], v13 offset:18432               // 000000008224: DBC44800 4C00000D
	ds_read_b64_tr_b8 a[78:79], v14 offset:18432               // 00000000822C: DBC44800 4E00000E
	v_mfma_f32_32x32x64_f8f6f4 v[92:107], a[80:87], v[44:51], v[92:107]// 000000008234: D3AE005C 0D725950
	ds_read_b64_tr_b8 a[80:81], v15                            // 00000000823C: DBC40000 5000000F
	ds_read_b64_tr_b8 a[82:83], v16                            // 000000008244: DBC40000 52000010
	ds_read_b64_tr_b8 a[84:85], v15 offset:18432               // 00000000824C: DBC44800 5400000F
	ds_read_b64_tr_b8 a[86:87], v16 offset:18432               // 000000008254: DBC44800 56000010
	v_mfma_f32_32x32x64_f8f6f4 v[108:123], a[88:95], v[44:51], v[108:123]// 00000000825C: D3AE006C 0DB25958
	ds_read_b64_tr_b8 a[88:89], v13 offset:1024                // 000000008264: DBC40400 5800000D
	ds_read_b64_tr_b8 a[90:91], v14 offset:1024                // 00000000826C: DBC40400 5A00000E
	ds_read_b64_tr_b8 a[92:93], v13 offset:19456               // 000000008274: DBC44C00 5C00000D
	ds_read_b64_tr_b8 a[94:95], v14 offset:19456               // 00000000827C: DBC44C00 5E00000E
	v_mfma_f32_32x32x64_f8f6f4 v[124:139], a[96:103], v[44:51], v[124:139]// 000000008284: D3AE007C 0DF25960
	ds_read_b64_tr_b8 a[96:97], v15 offset:1024                // 00000000828C: DBC40400 6000000F
	ds_read_b64_tr_b8 a[98:99], v16 offset:1024                // 000000008294: DBC40400 62000010
	ds_read_b64_tr_b8 a[100:101], v15 offset:19456             // 00000000829C: DBC44C00 6400000F
	ds_read_b64_tr_b8 a[102:103], v16 offset:19456             // 0000000082A4: DBC44C00 66000010
	v_mfma_f32_32x32x64_f8f6f4 v[140:155], a[104:111], v[44:51], v[140:155]// 0000000082AC: D3AE008C 0E325968
	ds_read_b64_tr_b8 a[104:105], v13 offset:2048              // 0000000082B4: DBC40800 6800000D
	ds_read_b64_tr_b8 a[106:107], v14 offset:2048              // 0000000082BC: DBC40800 6A00000E
	ds_read_b64_tr_b8 a[108:109], v13 offset:20480             // 0000000082C4: DBC45000 6C00000D
	ds_read_b64_tr_b8 a[110:111], v14 offset:20480             // 0000000082CC: DBC45000 6E00000E
	v_mfma_f32_32x32x64_f8f6f4 v[156:171], a[112:119], v[44:51], v[156:171]// 0000000082D4: D3AE009C 0E725970
	ds_read_b64_tr_b8 a[112:113], v15 offset:2048              // 0000000082DC: DBC40800 7000000F
	ds_read_b64_tr_b8 a[114:115], v16 offset:2048              // 0000000082E4: DBC40800 72000010
	ds_read_b64_tr_b8 a[116:117], v15 offset:20480             // 0000000082EC: DBC45000 7400000F
	ds_read_b64_tr_b8 a[118:119], v16 offset:20480             // 0000000082F4: DBC45000 76000010
	v_mfma_f32_32x32x64_f8f6f4 v[172:187], a[120:127], v[44:51], v[172:187]// 0000000082FC: D3AE00AC 0EB25978
	ds_read_b64_tr_b8 a[120:121], v13 offset:3072              // 000000008304: DBC40C00 7800000D
	ds_read_b64_tr_b8 a[122:123], v14 offset:3072              // 00000000830C: DBC40C00 7A00000E
	ds_read_b64_tr_b8 a[124:125], v13 offset:21504             // 000000008314: DBC45400 7C00000D
	ds_read_b64_tr_b8 a[126:127], v14 offset:21504             // 00000000831C: DBC45400 7E00000E
	v_mfma_f32_32x32x64_f8f6f4 v[188:203], a[128:135], v[44:51], v[188:203]// 000000008324: D3AE00BC 0EF25980
	ds_read_b64_tr_b8 a[128:129], v15 offset:3072              // 00000000832C: DBC40C00 8000000F
	ds_read_b64_tr_b8 a[130:131], v16 offset:3072              // 000000008334: DBC40C00 82000010
	ds_read_b64_tr_b8 a[132:133], v15 offset:21504             // 00000000833C: DBC45400 8400000F
	ds_read_b64_tr_b8 a[134:135], v16 offset:21504             // 000000008344: DBC45400 86000010
	v_mov_b32_e32 v36, v21                                     // 00000000834C: 7E480315
	v_mov_b32_e32 v37, v21                                     // 000000008350: 7E4A0315
	v_pk_mul_f32 v[76:77], v[36:37], v[76:77]                  // 000000008354: D3B1404C 18029924
	v_pk_mul_f32 v[78:79], v[36:37], v[78:79]                  // 00000000835C: D3B1404E 18029D24
	v_pk_mul_f32 v[80:81], v[36:37], v[80:81]                  // 000000008364: D3B14050 1802A124
	v_pk_mul_f32 v[82:83], v[36:37], v[82:83]                  // 00000000836C: D3B14052 1802A524
	v_pk_mul_f32 v[84:85], v[36:37], v[84:85]                  // 000000008374: D3B14054 1802A924
	v_pk_mul_f32 v[86:87], v[36:37], v[86:87]                  // 00000000837C: D3B14056 1802AD24
	v_pk_mul_f32 v[88:89], v[36:37], v[88:89]                  // 000000008384: D3B14058 1802B124
	v_pk_mul_f32 v[90:91], v[36:37], v[90:91]                  // 00000000838C: D3B1405A 1802B524
	v_pk_mul_f32 v[92:93], v[36:37], v[92:93]                  // 000000008394: D3B1405C 1802B924
	v_pk_mul_f32 v[94:95], v[36:37], v[94:95]                  // 00000000839C: D3B1405E 1802BD24
	v_pk_mul_f32 v[96:97], v[36:37], v[96:97]                  // 0000000083A4: D3B14060 1802C124
	v_pk_mul_f32 v[98:99], v[36:37], v[98:99]                  // 0000000083AC: D3B14062 1802C524
	v_pk_mul_f32 v[100:101], v[36:37], v[100:101]              // 0000000083B4: D3B14064 1802C924
	v_pk_mul_f32 v[102:103], v[36:37], v[102:103]              // 0000000083BC: D3B14066 1802CD24
	v_pk_mul_f32 v[104:105], v[36:37], v[104:105]              // 0000000083C4: D3B14068 1802D124
	v_pk_mul_f32 v[106:107], v[36:37], v[106:107]              // 0000000083CC: D3B1406A 1802D524
	v_pk_mul_f32 v[108:109], v[36:37], v[108:109]              // 0000000083D4: D3B1406C 1802D924
	v_pk_mul_f32 v[110:111], v[36:37], v[110:111]              // 0000000083DC: D3B1406E 1802DD24
	v_pk_mul_f32 v[112:113], v[36:37], v[112:113]              // 0000000083E4: D3B14070 1802E124
	v_pk_mul_f32 v[114:115], v[36:37], v[114:115]              // 0000000083EC: D3B14072 1802E524
	v_pk_mul_f32 v[116:117], v[36:37], v[116:117]              // 0000000083F4: D3B14074 1802E924
	v_pk_mul_f32 v[118:119], v[36:37], v[118:119]              // 0000000083FC: D3B14076 1802ED24
	v_pk_mul_f32 v[120:121], v[36:37], v[120:121]              // 000000008404: D3B14078 1802F124
	v_pk_mul_f32 v[122:123], v[36:37], v[122:123]              // 00000000840C: D3B1407A 1802F524
	v_pk_mul_f32 v[124:125], v[36:37], v[124:125]              // 000000008414: D3B1407C 1802F924
	v_pk_mul_f32 v[126:127], v[36:37], v[126:127]              // 00000000841C: D3B1407E 1802FD24
	v_pk_mul_f32 v[128:129], v[36:37], v[128:129]              // 000000008424: D3B14080 18030124
	v_pk_mul_f32 v[130:131], v[36:37], v[130:131]              // 00000000842C: D3B14082 18030524
	v_pk_mul_f32 v[132:133], v[36:37], v[132:133]              // 000000008434: D3B14084 18030924
	v_pk_mul_f32 v[134:135], v[36:37], v[134:135]              // 00000000843C: D3B14086 18030D24
	v_pk_mul_f32 v[136:137], v[36:37], v[136:137]              // 000000008444: D3B14088 18031124
	v_pk_mul_f32 v[138:139], v[36:37], v[138:139]              // 00000000844C: D3B1408A 18031524
	v_pk_mul_f32 v[140:141], v[36:37], v[140:141]              // 000000008454: D3B1408C 18031924
	v_pk_mul_f32 v[142:143], v[36:37], v[142:143]              // 00000000845C: D3B1408E 18031D24
	v_pk_mul_f32 v[144:145], v[36:37], v[144:145]              // 000000008464: D3B14090 18032124
	v_pk_mul_f32 v[146:147], v[36:37], v[146:147]              // 00000000846C: D3B14092 18032524
	v_pk_mul_f32 v[148:149], v[36:37], v[148:149]              // 000000008474: D3B14094 18032924
	v_pk_mul_f32 v[150:151], v[36:37], v[150:151]              // 00000000847C: D3B14096 18032D24
	v_pk_mul_f32 v[152:153], v[36:37], v[152:153]              // 000000008484: D3B14098 18033124
	v_pk_mul_f32 v[154:155], v[36:37], v[154:155]              // 00000000848C: D3B1409A 18033524
	v_pk_mul_f32 v[156:157], v[36:37], v[156:157]              // 000000008494: D3B1409C 18033924
	v_pk_mul_f32 v[158:159], v[36:37], v[158:159]              // 00000000849C: D3B1409E 18033D24
	v_pk_mul_f32 v[160:161], v[36:37], v[160:161]              // 0000000084A4: D3B140A0 18034124
	v_pk_mul_f32 v[162:163], v[36:37], v[162:163]              // 0000000084AC: D3B140A2 18034524
	v_pk_mul_f32 v[164:165], v[36:37], v[164:165]              // 0000000084B4: D3B140A4 18034924
	v_pk_mul_f32 v[166:167], v[36:37], v[166:167]              // 0000000084BC: D3B140A6 18034D24
	v_pk_mul_f32 v[168:169], v[36:37], v[168:169]              // 0000000084C4: D3B140A8 18035124
	v_pk_mul_f32 v[170:171], v[36:37], v[170:171]              // 0000000084CC: D3B140AA 18035524
	v_pk_mul_f32 v[172:173], v[36:37], v[172:173]              // 0000000084D4: D3B140AC 18035924
	v_pk_mul_f32 v[174:175], v[36:37], v[174:175]              // 0000000084DC: D3B140AE 18035D24
	v_pk_mul_f32 v[176:177], v[36:37], v[176:177]              // 0000000084E4: D3B140B0 18036124
	v_pk_mul_f32 v[178:179], v[36:37], v[178:179]              // 0000000084EC: D3B140B2 18036524
	v_pk_mul_f32 v[180:181], v[36:37], v[180:181]              // 0000000084F4: D3B140B4 18036924
	v_pk_mul_f32 v[182:183], v[36:37], v[182:183]              // 0000000084FC: D3B140B6 18036D24
	v_pk_mul_f32 v[184:185], v[36:37], v[184:185]              // 000000008504: D3B140B8 18037124
	v_pk_mul_f32 v[186:187], v[36:37], v[186:187]              // 00000000850C: D3B140BA 18037524
	v_pk_mul_f32 v[188:189], v[36:37], v[188:189]              // 000000008514: D3B140BC 18037924
	v_pk_mul_f32 v[190:191], v[36:37], v[190:191]              // 00000000851C: D3B140BE 18037D24
	v_pk_mul_f32 v[192:193], v[36:37], v[192:193]              // 000000008524: D3B140C0 18038124
	v_pk_mul_f32 v[194:195], v[36:37], v[194:195]              // 00000000852C: D3B140C2 18038524
	v_pk_mul_f32 v[196:197], v[36:37], v[196:197]              // 000000008534: D3B140C4 18038924
	v_pk_mul_f32 v[198:199], v[36:37], v[198:199]              // 00000000853C: D3B140C6 18038D24
	v_pk_mul_f32 v[200:201], v[36:37], v[200:201]              // 000000008544: D3B140C8 18039124
	v_pk_mul_f32 v[202:203], v[36:37], v[202:203]              // 00000000854C: D3B140CA 18039524
	s_waitcnt vmcnt(0)                                         // 000000008554: BF8C0F70
	s_barrier                                                  // 000000008558: BF8A0000
	v_mfma_f32_32x32x64_f8f6f4 v[76:91], a[72:79], v[60:67], v[76:91]// 00000000855C: D3AE004C 0D327948
	ds_read_b128 a[72:75], v28                                 // 000000008564: DBFE0000 4800001C
	ds_read_b128 a[76:79], v29                                 // 00000000856C: DBFE0000 4C00001D
	v_mfma_f32_32x32x64_f8f6f4 v[92:107], a[80:87], v[60:67], v[92:107]// 000000008574: D3AE005C 0D727950
	ds_read_b128 a[80:83], v28 offset:1024                     // 00000000857C: DBFE0400 5000001C
	ds_read_b128 a[84:87], v29 offset:1024                     // 000000008584: DBFE0400 5400001D
	v_mfma_f32_32x32x64_f8f6f4 v[108:123], a[88:95], v[60:67], v[108:123]// 00000000858C: D3AE006C 0DB27958
	ds_read_b128 a[88:91], v28 offset:2048                     // 000000008594: DBFE0800 5800001C
	ds_read_b128 a[92:95], v29 offset:2048                     // 00000000859C: DBFE0800 5C00001D
	v_mfma_f32_32x32x64_f8f6f4 v[124:139], a[96:103], v[60:67], v[124:139]// 0000000085A4: D3AE007C 0DF27960
	ds_read_b128 a[96:99], v28 offset:3072                     // 0000000085AC: DBFE0C00 6000001C
	ds_read_b128 a[100:103], v29 offset:3072                   // 0000000085B4: DBFE0C00 6400001D
	v_mfma_f32_32x32x64_f8f6f4 v[140:155], a[104:111], v[60:67], v[140:155]// 0000000085BC: D3AE008C 0E327968
	ds_read_b128 a[104:107], v28 offset:4096                   // 0000000085C4: DBFE1000 6800001C
	ds_read_b128 a[108:111], v29 offset:4096                   // 0000000085CC: DBFE1000 6C00001D
	v_mfma_f32_32x32x64_f8f6f4 v[156:171], a[112:119], v[60:67], v[156:171]// 0000000085D4: D3AE009C 0E727970
	ds_read_b128 a[112:115], v28 offset:5120                   // 0000000085DC: DBFE1400 7000001C
	ds_read_b128 a[116:119], v29 offset:5120                   // 0000000085E4: DBFE1400 7400001D
	v_mfma_f32_32x32x64_f8f6f4 v[172:187], a[120:127], v[60:67], v[172:187]// 0000000085EC: D3AE00AC 0EB27978
	ds_read_b128 a[120:123], v28 offset:6144                   // 0000000085F4: DBFE1800 7800001C
	ds_read_b128 a[124:127], v29 offset:6144                   // 0000000085FC: DBFE1800 7C00001D
	v_mfma_f32_32x32x64_f8f6f4 v[188:203], a[128:135], v[60:67], v[188:203]// 000000008604: D3AE00BC 0EF27980
	ds_read_b128 a[128:131], v28 offset:7168                   // 00000000860C: DBFE1C00 8000001C
	ds_read_b128 a[132:135], v29 offset:7168                   // 000000008614: DBFE1C00 8400001D
	ds_read_b128 a[136:139], v28 offset:8192                   // 00000000861C: DBFE2000 8800001C
	ds_read_b128 a[140:143], v29 offset:8192                   // 000000008624: DBFE2000 8C00001D
	s_branch label_7600                                        // 00000000862C: BF8204B4

0000000000008630 <label_6330>:
	s_mov_b32 s56, 64                                          // 000000008630: BEB800C0
	s_mul_i32 s83, s56, s71                                    // 000000008634: 92534738
	s_cmp_le_i32 s83, s82                                      // 000000008638: BF055253
	s_cbranch_scc1 label_6524                                  // 00000000863C: BF850079
	s_mov_b32 s36, 0xffff0000                                  // 000000008640: BEA400FF FFFF0000
	s_mov_b32 s37, 0xffff0000                                  // 000000008648: BEA500FF FFFF0000
	v_mov_b32_e32 v36, s82                                     // 000000008650: 7E480252
	s_add_i32 s56, s82, 1                                      // 000000008654: 81388152
	v_mov_b32_e32 v37, s56                                     // 000000008658: 7E4A0238
	v_cndmask_b32_e64 v35, v36, v37, s[36:37]                  // 00000000865C: D1000023 00924B24
	s_and_b32 s56, 2, s7                                       // 000000008664: 86380782
	v_add_i32 v35, s56, v35                                    // 000000008668: D29C0023 00024638
	s_sub_u32 s56, s83, 64                                     // 000000008670: 80B8C053
	v_lshrrev_b32_e32 v204, 5, v0                              // 000000008674: 21980085
	v_mul_i32_i24_e32 v204, 4, v204                            // 000000008678: 0D999884
	v_add_u32_e32 v204, s56, v204                              // 00000000867C: 69999838
	s_and_b32 s56, s7, 1                                       // 000000008680: 86388107
	s_mov_b32 s57, 32                                          // 000000008684: BEB900A0
	s_mul_i32 s56, s57, s56                                    // 000000008688: 92383839
	v_add_u32_e32 v204, s56, v204                              // 00000000868C: 69999838
	v_add_u32_e32 v205, 1, v204                                // 000000008690: 699B9881
	v_add_u32_e32 v206, 2, v204                                // 000000008694: 699D9882
	v_add_u32_e32 v207, 3, v204                                // 000000008698: 699F9883
	v_mov_b32_e32 v37, 0xff800000                              // 00000000869C: 7E4A02FF FF800000
	v_cmp_le_i32_e64 s[36:37], v204, v35                       // 0000000086A4: D0C30024 000247CC
	s_nop 0                                                    // 0000000086AC: BF800000
	v_cndmask_b32_e64 v44, v37, v44, s[36:37]                  // 0000000086B0: D100002C 00925925
	v_add_u32_e32 v204, 8, v204                                // 0000000086B8: 69999888
	v_cmp_le_i32_e64 s[36:37], v205, v35                       // 0000000086BC: D0C30024 000247CD
	s_nop 0                                                    // 0000000086C4: BF800000
	v_cndmask_b32_e64 v45, v37, v45, s[36:37]                  // 0000000086C8: D100002D 00925B25
	v_add_u32_e32 v205, 8, v205                                // 0000000086D0: 699B9A88
	v_cmp_le_i32_e64 s[36:37], v206, v35                       // 0000000086D4: D0C30024 000247CE
	s_nop 0                                                    // 0000000086DC: BF800000
	v_cndmask_b32_e64 v46, v37, v46, s[36:37]                  // 0000000086E0: D100002E 00925D25
	v_add_u32_e32 v206, 8, v206                                // 0000000086E8: 699D9C88
	v_cmp_le_i32_e64 s[36:37], v207, v35                       // 0000000086EC: D0C30024 000247CF
	s_nop 0                                                    // 0000000086F4: BF800000
	v_cndmask_b32_e64 v47, v37, v47, s[36:37]                  // 0000000086F8: D100002F 00925F25
	v_add_u32_e32 v207, 8, v207                                // 000000008700: 699F9E88
	v_cmp_le_i32_e64 s[36:37], v204, v35                       // 000000008704: D0C30024 000247CC
	s_nop 0                                                    // 00000000870C: BF800000
	v_cndmask_b32_e64 v48, v37, v48, s[36:37]                  // 000000008710: D1000030 00926125
	v_add_u32_e32 v204, 8, v204                                // 000000008718: 69999888
	v_cmp_le_i32_e64 s[36:37], v205, v35                       // 00000000871C: D0C30024 000247CD
	s_nop 0                                                    // 000000008724: BF800000
	v_cndmask_b32_e64 v49, v37, v49, s[36:37]                  // 000000008728: D1000031 00926325
	v_add_u32_e32 v205, 8, v205                                // 000000008730: 699B9A88
	v_cmp_le_i32_e64 s[36:37], v206, v35                       // 000000008734: D0C30024 000247CE
	s_nop 0                                                    // 00000000873C: BF800000
	v_cndmask_b32_e64 v50, v37, v50, s[36:37]                  // 000000008740: D1000032 00926525
	v_add_u32_e32 v206, 8, v206                                // 000000008748: 699D9C88
	v_cmp_le_i32_e64 s[36:37], v207, v35                       // 00000000874C: D0C30024 000247CF
	s_nop 0                                                    // 000000008754: BF800000
	v_cndmask_b32_e64 v51, v37, v51, s[36:37]                  // 000000008758: D1000033 00926725
	v_add_u32_e32 v207, 8, v207                                // 000000008760: 699F9E88
	v_cmp_le_i32_e64 s[36:37], v204, v35                       // 000000008764: D0C30024 000247CC
	s_nop 0                                                    // 00000000876C: BF800000
	v_cndmask_b32_e64 v52, v37, v52, s[36:37]                  // 000000008770: D1000034 00926925
	v_add_u32_e32 v204, 8, v204                                // 000000008778: 69999888
	v_cmp_le_i32_e64 s[36:37], v205, v35                       // 00000000877C: D0C30024 000247CD
	s_nop 0                                                    // 000000008784: BF800000
	v_cndmask_b32_e64 v53, v37, v53, s[36:37]                  // 000000008788: D1000035 00926B25
	v_add_u32_e32 v205, 8, v205                                // 000000008790: 699B9A88
	v_cmp_le_i32_e64 s[36:37], v206, v35                       // 000000008794: D0C30024 000247CE
	s_nop 0                                                    // 00000000879C: BF800000
	v_cndmask_b32_e64 v54, v37, v54, s[36:37]                  // 0000000087A0: D1000036 00926D25
	v_add_u32_e32 v206, 8, v206                                // 0000000087A8: 699D9C88
	v_cmp_le_i32_e64 s[36:37], v207, v35                       // 0000000087AC: D0C30024 000247CF
	s_nop 0                                                    // 0000000087B4: BF800000
	v_cndmask_b32_e64 v55, v37, v55, s[36:37]                  // 0000000087B8: D1000037 00926F25
	v_add_u32_e32 v207, 8, v207                                // 0000000087C0: 699F9E88
	v_cmp_le_i32_e64 s[36:37], v204, v35                       // 0000000087C4: D0C30024 000247CC
	s_nop 0                                                    // 0000000087CC: BF800000
	v_cndmask_b32_e64 v56, v37, v56, s[36:37]                  // 0000000087D0: D1000038 00927125
	v_add_u32_e32 v204, 8, v204                                // 0000000087D8: 69999888
	v_cmp_le_i32_e64 s[36:37], v205, v35                       // 0000000087DC: D0C30024 000247CD
	s_nop 0                                                    // 0000000087E4: BF800000
	v_cndmask_b32_e64 v57, v37, v57, s[36:37]                  // 0000000087E8: D1000039 00927325
	v_add_u32_e32 v205, 8, v205                                // 0000000087F0: 699B9A88
	v_cmp_le_i32_e64 s[36:37], v206, v35                       // 0000000087F4: D0C30024 000247CE
	s_nop 0                                                    // 0000000087FC: BF800000
	v_cndmask_b32_e64 v58, v37, v58, s[36:37]                  // 000000008800: D100003A 00927525
	v_add_u32_e32 v206, 8, v206                                // 000000008808: 699D9C88
	v_cmp_le_i32_e64 s[36:37], v207, v35                       // 00000000880C: D0C30024 000247CF
	s_nop 0                                                    // 000000008814: BF800000
	v_cndmask_b32_e64 v59, v37, v59, s[36:37]                  // 000000008818: D100003B 00927725
	v_add_u32_e32 v207, 8, v207                                // 000000008820: 699F9E88

0000000000008824 <label_6524>:
	s_add_u32 s83, s84, s83                                    // 000000008824: 80535354
	s_nop 2                                                    // 000000008828: BF800002
	v_mov_b32_e32 v213, v44                                    // 00000000882C: 7FAA032C
	v_max3_f32 v213, v44, v45, v213                            // 000000008830: D1D300D5 07565B2C
	v_max3_f32 v213, v46, v47, v213                            // 000000008838: D1D300D5 07565F2E
	v_max3_f32 v213, v48, v49, v213                            // 000000008840: D1D300D5 07566330
	v_max3_f32 v213, v50, v51, v213                            // 000000008848: D1D300D5 07566732
	v_max3_f32 v213, v52, v53, v213                            // 000000008850: D1D300D5 07566B34
	v_max3_f32 v213, v54, v55, v213                            // 000000008858: D1D300D5 07566F36
	v_max3_f32 v213, v56, v57, v213                            // 000000008860: D1D300D5 07567338
	v_max3_f32 v213, v58, v59, v213                            // 000000008868: D1D300D5 0756773A
	v_mov_b32_e32 v35, v213                                    // 000000008870: 7E4603D5
	v_mov_b32_e32 v36, v213                                    // 000000008874: 7E4803D5
	s_nop 1                                                    // 000000008878: BF800001
	v_permlane32_swap_b32_e32 v35, v36                         // 00000000887C: 7E46B524
	v_max3_f32 v213, v35, v36, v213                            // 000000008880: D1D300D5 07564923
	ds_write_b32 v41, v213                                     // 000000008888: D81A0000 0000D529
	s_waitcnt lgkmcnt(0)                                       // 000000008890: BF8CC07F
	s_barrier                                                  // 000000008894: BF8A0000
	ds_read_b32 v35, v40                                       // 000000008898: D86C0000 23000028
	ds_read_b32 v36, v40 offset:256                            // 0000000088A0: D86C0100 24000028
	s_waitcnt lgkmcnt(0)                                       // 0000000088A8: BF8CC07F
	v_max3_f32 v213, v35, v36, v213                            // 0000000088AC: D1D300D5 07564923
	v_mov_b32_e32 v35, 0xff800000                              // 0000000088B4: 7E4602FF FF800000
	v_cmp_eq_u32_e64 s[36:37], v35, v2                         // 0000000088BC: D0CA0024 00020523
	v_max_f32_e32 v216, v213, v2                               // 0000000088C4: 17B005D5
	v_sub_f32_e32 v21, v2, v216                                // 0000000088C8: 042BB102
	v_cndmask_b32_e64 v21, v21, 0, s[36:37]                    // 0000000088CC: D1000015 00910115
	v_mov_b32_e32 v2, v216                                     // 0000000088D4: 7E0403D8
	v_mul_f32_e32 v212, s5, v216                               // 0000000088D8: 0BA9B005
	v_mul_f32_e32 v21, s5, v21                                 // 0000000088DC: 0A2A2A05
	v_exp_f32_e32 v21, v21                                     // 0000000088E0: 7E2A4115
	v_fma_f32 v44, v44, s5, -v212                              // 0000000088E4: D1CB002C 87500B2C
	v_fma_f32 v45, v45, s5, -v212                              // 0000000088EC: D1CB002D 87500B2D
	v_fma_f32 v46, v46, s5, -v212                              // 0000000088F4: D1CB002E 87500B2E
	v_fma_f32 v47, v47, s5, -v212                              // 0000000088FC: D1CB002F 87500B2F
	v_fma_f32 v48, v48, s5, -v212                              // 000000008904: D1CB0030 87500B30
	v_fma_f32 v49, v49, s5, -v212                              // 00000000890C: D1CB0031 87500B31
	v_fma_f32 v50, v50, s5, -v212                              // 000000008914: D1CB0032 87500B32
	v_fma_f32 v51, v51, s5, -v212                              // 00000000891C: D1CB0033 87500B33
	v_fma_f32 v52, v52, s5, -v212                              // 000000008924: D1CB0034 87500B34
	v_fma_f32 v53, v53, s5, -v212                              // 00000000892C: D1CB0035 87500B35
	v_fma_f32 v54, v54, s5, -v212                              // 000000008934: D1CB0036 87500B36
	v_fma_f32 v55, v55, s5, -v212                              // 00000000893C: D1CB0037 87500B37
	v_fma_f32 v56, v56, s5, -v212                              // 000000008944: D1CB0038 87500B38
	v_fma_f32 v57, v57, s5, -v212                              // 00000000894C: D1CB0039 87500B39
	v_fma_f32 v58, v58, s5, -v212                              // 000000008954: D1CB003A 87500B3A
	v_fma_f32 v59, v59, s5, -v212                              // 00000000895C: D1CB003B 87500B3B
	v_mov_b32_e32 v35, 0xffc00000                              // 000000008964: 7E4602FF FFC00000
	v_exp_f32_e32 v44, v44                                     // 00000000896C: 7E58412C
	v_exp_f32_e32 v45, v45                                     // 000000008970: 7E5A412D
	v_exp_f32_e32 v46, v46                                     // 000000008974: 7E5C412E
	v_exp_f32_e32 v47, v47                                     // 000000008978: 7E5E412F
	v_exp_f32_e32 v48, v48                                     // 00000000897C: 7E604130
	v_exp_f32_e32 v49, v49                                     // 000000008980: 7E624131
	v_exp_f32_e32 v50, v50                                     // 000000008984: 7E644132
	v_exp_f32_e32 v51, v51                                     // 000000008988: 7E664133
	v_exp_f32_e32 v52, v52                                     // 00000000898C: 7E684134
	v_exp_f32_e32 v53, v53                                     // 000000008990: 7E6A4135
	v_exp_f32_e32 v54, v54                                     // 000000008994: 7E6C4136
	v_exp_f32_e32 v55, v55                                     // 000000008998: 7E6E4137
	v_exp_f32_e32 v56, v56                                     // 00000000899C: 7E704138
	v_exp_f32_e32 v57, v57                                     // 0000000089A0: 7E724139
	v_exp_f32_e32 v58, v58                                     // 0000000089A4: 7E74413A
	v_exp_f32_e32 v59, v59                                     // 0000000089A8: 7E76413B
	v_mul_f32_e32 v4, v21, v4                                  // 0000000089AC: 0A080915
	v_mov_b32_e32 v35, v44                                     // 0000000089B0: 7E46032C
	v_add_f32_e32 v35, v45, v35                                // 0000000089B4: 0246472D
	v_add_f32_e32 v35, v46, v35                                // 0000000089B8: 0246472E
	v_add_f32_e32 v35, v47, v35                                // 0000000089BC: 0246472F
	v_add_f32_e32 v35, v48, v35                                // 0000000089C0: 02464730
	v_add_f32_e32 v35, v49, v35                                // 0000000089C4: 02464731
	v_add_f32_e32 v35, v50, v35                                // 0000000089C8: 02464732
	v_add_f32_e32 v35, v51, v35                                // 0000000089CC: 02464733
	v_add_f32_e32 v35, v52, v35                                // 0000000089D0: 02464734
	v_add_f32_e32 v35, v53, v35                                // 0000000089D4: 02464735
	v_add_f32_e32 v35, v54, v35                                // 0000000089D8: 02464736
	v_add_f32_e32 v35, v55, v35                                // 0000000089DC: 02464737
	v_add_f32_e32 v35, v56, v35                                // 0000000089E0: 02464738
	v_add_f32_e32 v35, v57, v35                                // 0000000089E4: 02464739
	v_add_f32_e32 v35, v58, v35                                // 0000000089E8: 0246473A
	v_add_f32_e32 v35, v59, v35                                // 0000000089EC: 0246473B
	v_add_f32_e32 v4, v35, v4                                  // 0000000089F0: 02080923
	v_cvt_pk_fp8_f32 v44, v44, v45                             // 0000000089F4: D2A2002C 00025B2C
	v_cvt_pk_fp8_f32 v44, v46, v47 op_sel:[0,0,1]              // 0000000089FC: D2A2402C 00025F2E
	v_cvt_pk_fp8_f32 v45, v48, v49                             // 000000008A04: D2A2002D 00026330
	v_cvt_pk_fp8_f32 v45, v50, v51 op_sel:[0,0,1]              // 000000008A0C: D2A2402D 00026732
	v_cvt_pk_fp8_f32 v46, v52, v53                             // 000000008A14: D2A2002E 00026B34
	v_cvt_pk_fp8_f32 v46, v54, v55 op_sel:[0,0,1]              // 000000008A1C: D2A2402E 00026F36
	v_cvt_pk_fp8_f32 v47, v56, v57                             // 000000008A24: D2A2002F 00027338
	v_cvt_pk_fp8_f32 v47, v58, v59 op_sel:[0,0,1]              // 000000008A2C: D2A2402F 0002773A
	ds_write_b128 v43, v[44:47] offset:1024                    // 000000008A34: D9BE0400 00002C2B
	s_waitcnt lgkmcnt(0)                                       // 000000008A3C: BF8CC07F
	s_barrier                                                  // 000000008A40: BF8A0000
	ds_read_b128 v[44:47], v42 offset:1024                     // 000000008A44: D9FE0400 2C00002A
	ds_read_b128 v[48:51], v42 offset:2048                     // 000000008A4C: D9FE0800 3000002A
	s_waitcnt lgkmcnt(0)                                       // 000000008A54: BF8CC07F
	v_permlane32_swap_b32_e32 v44, v46                         // 000000008A58: 7E58B52E
	v_permlane32_swap_b32_e32 v45, v47                         // 000000008A5C: 7E5AB52F
	v_swap_b32 v45, v46                                        // 000000008A60: 7E5AA32E
	v_permlane32_swap_b32_e32 v48, v50                         // 000000008A64: 7E60B532
	v_permlane32_swap_b32_e32 v49, v51                         // 000000008A68: 7E62B533
	v_swap_b32 v49, v50                                        // 000000008A6C: 7E62A332
	ds_read_b64_tr_b8 a[72:73], v13                            // 000000008A70: DBC40000 4800000D
	ds_read_b64_tr_b8 a[74:75], v14                            // 000000008A78: DBC40000 4A00000E
	ds_read_b64_tr_b8 a[76:77], v13 offset:18432               // 000000008A80: DBC44800 4C00000D
	ds_read_b64_tr_b8 a[78:79], v14 offset:18432               // 000000008A88: DBC44800 4E00000E
	ds_read_b64_tr_b8 a[80:81], v15                            // 000000008A90: DBC40000 5000000F
	ds_read_b64_tr_b8 a[82:83], v16                            // 000000008A98: DBC40000 52000010
	ds_read_b64_tr_b8 a[84:85], v15 offset:18432               // 000000008AA0: DBC44800 5400000F
	ds_read_b64_tr_b8 a[86:87], v16 offset:18432               // 000000008AA8: DBC44800 56000010
	ds_read_b64_tr_b8 a[88:89], v13 offset:1024                // 000000008AB0: DBC40400 5800000D
	ds_read_b64_tr_b8 a[90:91], v14 offset:1024                // 000000008AB8: DBC40400 5A00000E
	ds_read_b64_tr_b8 a[92:93], v13 offset:19456               // 000000008AC0: DBC44C00 5C00000D
	ds_read_b64_tr_b8 a[94:95], v14 offset:19456               // 000000008AC8: DBC44C00 5E00000E
	ds_read_b64_tr_b8 a[96:97], v15 offset:1024                // 000000008AD0: DBC40400 6000000F
	ds_read_b64_tr_b8 a[98:99], v16 offset:1024                // 000000008AD8: DBC40400 62000010
	ds_read_b64_tr_b8 a[100:101], v15 offset:19456             // 000000008AE0: DBC44C00 6400000F
	ds_read_b64_tr_b8 a[102:103], v16 offset:19456             // 000000008AE8: DBC44C00 66000010
	ds_read_b64_tr_b8 a[104:105], v13 offset:2048              // 000000008AF0: DBC40800 6800000D
	ds_read_b64_tr_b8 a[106:107], v14 offset:2048              // 000000008AF8: DBC40800 6A00000E
	ds_read_b64_tr_b8 a[108:109], v13 offset:20480             // 000000008B00: DBC45000 6C00000D
	ds_read_b64_tr_b8 a[110:111], v14 offset:20480             // 000000008B08: DBC45000 6E00000E
	ds_read_b64_tr_b8 a[112:113], v15 offset:2048              // 000000008B10: DBC40800 7000000F
	ds_read_b64_tr_b8 a[114:115], v16 offset:2048              // 000000008B18: DBC40800 72000010
	ds_read_b64_tr_b8 a[116:117], v15 offset:20480             // 000000008B20: DBC45000 7400000F
	ds_read_b64_tr_b8 a[118:119], v16 offset:20480             // 000000008B28: DBC45000 76000010
	ds_read_b64_tr_b8 a[120:121], v13 offset:3072              // 000000008B30: DBC40C00 7800000D
	ds_read_b64_tr_b8 a[122:123], v14 offset:3072              // 000000008B38: DBC40C00 7A00000E
	ds_read_b64_tr_b8 a[124:125], v13 offset:21504             // 000000008B40: DBC45400 7C00000D
	ds_read_b64_tr_b8 a[126:127], v14 offset:21504             // 000000008B48: DBC45400 7E00000E
	ds_read_b64_tr_b8 a[128:129], v15 offset:3072              // 000000008B50: DBC40C00 8000000F
	ds_read_b64_tr_b8 a[130:131], v16 offset:3072              // 000000008B58: DBC40C00 82000010
	ds_read_b64_tr_b8 a[132:133], v15 offset:21504             // 000000008B60: DBC45400 8400000F
	ds_read_b64_tr_b8 a[134:135], v16 offset:21504             // 000000008B68: DBC45400 86000010
	s_waitcnt lgkmcnt(4)                                       // 000000008B70: BF8CC47F
	v_mfma_f32_32x32x64_f8f6f4 v[76:91], a[72:79], v[60:67], v[76:91]// 000000008B74: D3AE004C 0D327948
	ds_read_b64_tr_b8 a[72:73], v17                            // 000000008B7C: DBC40000 48000011
	ds_read_b64_tr_b8 a[74:75], v18                            // 000000008B84: DBC40000 4A000012
	ds_read_b64_tr_b8 a[76:77], v17 offset:18432               // 000000008B8C: DBC44800 4C000011
	ds_read_b64_tr_b8 a[78:79], v18 offset:18432               // 000000008B94: DBC44800 4E000012
	v_mfma_f32_32x32x64_f8f6f4 v[92:107], a[80:87], v[60:67], v[92:107]// 000000008B9C: D3AE005C 0D727950
	ds_read_b64_tr_b8 a[80:81], v19                            // 000000008BA4: DBC40000 50000013
	ds_read_b64_tr_b8 a[82:83], v20                            // 000000008BAC: DBC40000 52000014
	ds_read_b64_tr_b8 a[84:85], v19 offset:18432               // 000000008BB4: DBC44800 54000013
	ds_read_b64_tr_b8 a[86:87], v20 offset:18432               // 000000008BBC: DBC44800 56000014
	v_mfma_f32_32x32x64_f8f6f4 v[108:123], a[88:95], v[60:67], v[108:123]// 000000008BC4: D3AE006C 0DB27958
	ds_read_b64_tr_b8 a[88:89], v17 offset:1024                // 000000008BCC: DBC40400 58000011
	ds_read_b64_tr_b8 a[90:91], v18 offset:1024                // 000000008BD4: DBC40400 5A000012
	ds_read_b64_tr_b8 a[92:93], v17 offset:19456               // 000000008BDC: DBC44C00 5C000011
	ds_read_b64_tr_b8 a[94:95], v18 offset:19456               // 000000008BE4: DBC44C00 5E000012
	v_mfma_f32_32x32x64_f8f6f4 v[124:139], a[96:103], v[60:67], v[124:139]// 000000008BEC: D3AE007C 0DF27960
	ds_read_b64_tr_b8 a[96:97], v19 offset:1024                // 000000008BF4: DBC40400 60000013
	ds_read_b64_tr_b8 a[98:99], v20 offset:1024                // 000000008BFC: DBC40400 62000014
	ds_read_b64_tr_b8 a[100:101], v19 offset:19456             // 000000008C04: DBC44C00 64000013
	ds_read_b64_tr_b8 a[102:103], v20 offset:19456             // 000000008C0C: DBC44C00 66000014
	v_mfma_f32_32x32x64_f8f6f4 v[140:155], a[104:111], v[60:67], v[140:155]// 000000008C14: D3AE008C 0E327968
	ds_read_b64_tr_b8 a[104:105], v17 offset:2048              // 000000008C1C: DBC40800 68000011
	ds_read_b64_tr_b8 a[106:107], v18 offset:2048              // 000000008C24: DBC40800 6A000012
	ds_read_b64_tr_b8 a[108:109], v17 offset:20480             // 000000008C2C: DBC45000 6C000011
	ds_read_b64_tr_b8 a[110:111], v18 offset:20480             // 000000008C34: DBC45000 6E000012
	v_mfma_f32_32x32x64_f8f6f4 v[156:171], a[112:119], v[60:67], v[156:171]// 000000008C3C: D3AE009C 0E727970
	ds_read_b64_tr_b8 a[112:113], v19 offset:2048              // 000000008C44: DBC40800 70000013
	ds_read_b64_tr_b8 a[114:115], v20 offset:2048              // 000000008C4C: DBC40800 72000014
	ds_read_b64_tr_b8 a[116:117], v19 offset:20480             // 000000008C54: DBC45000 74000013
	ds_read_b64_tr_b8 a[118:119], v20 offset:20480             // 000000008C5C: DBC45000 76000014
	v_mfma_f32_32x32x64_f8f6f4 v[172:187], a[120:127], v[60:67], v[172:187]// 000000008C64: D3AE00AC 0EB27978
	ds_read_b64_tr_b8 a[120:121], v17 offset:3072              // 000000008C6C: DBC40C00 78000011
	ds_read_b64_tr_b8 a[122:123], v18 offset:3072              // 000000008C74: DBC40C00 7A000012
	ds_read_b64_tr_b8 a[124:125], v17 offset:21504             // 000000008C7C: DBC45400 7C000011
	ds_read_b64_tr_b8 a[126:127], v18 offset:21504             // 000000008C84: DBC45400 7E000012
	v_mfma_f32_32x32x64_f8f6f4 v[188:203], a[128:135], v[60:67], v[188:203]// 000000008C8C: D3AE00BC 0EF27980
	ds_read_b64_tr_b8 a[128:129], v19 offset:3072              // 000000008C94: DBC40C00 80000013
	ds_read_b64_tr_b8 a[130:131], v20 offset:3072              // 000000008C9C: DBC40C00 82000014
	ds_read_b64_tr_b8 a[132:133], v19 offset:21504             // 000000008CA4: DBC45400 84000013
	ds_read_b64_tr_b8 a[134:135], v20 offset:21504             // 000000008CAC: DBC45400 86000014
	v_mov_b32_e32 v36, v21                                     // 000000008CB4: 7E480315
	v_mov_b32_e32 v37, v21                                     // 000000008CB8: 7E4A0315
	v_pk_mul_f32 v[76:77], v[36:37], v[76:77]                  // 000000008CBC: D3B1404C 18029924
	v_pk_mul_f32 v[78:79], v[36:37], v[78:79]                  // 000000008CC4: D3B1404E 18029D24
	v_pk_mul_f32 v[80:81], v[36:37], v[80:81]                  // 000000008CCC: D3B14050 1802A124
	v_pk_mul_f32 v[82:83], v[36:37], v[82:83]                  // 000000008CD4: D3B14052 1802A524
	v_pk_mul_f32 v[84:85], v[36:37], v[84:85]                  // 000000008CDC: D3B14054 1802A924
	v_pk_mul_f32 v[86:87], v[36:37], v[86:87]                  // 000000008CE4: D3B14056 1802AD24
	v_pk_mul_f32 v[88:89], v[36:37], v[88:89]                  // 000000008CEC: D3B14058 1802B124
	v_pk_mul_f32 v[90:91], v[36:37], v[90:91]                  // 000000008CF4: D3B1405A 1802B524
	v_pk_mul_f32 v[92:93], v[36:37], v[92:93]                  // 000000008CFC: D3B1405C 1802B924
	v_pk_mul_f32 v[94:95], v[36:37], v[94:95]                  // 000000008D04: D3B1405E 1802BD24
	v_pk_mul_f32 v[96:97], v[36:37], v[96:97]                  // 000000008D0C: D3B14060 1802C124
	v_pk_mul_f32 v[98:99], v[36:37], v[98:99]                  // 000000008D14: D3B14062 1802C524
	v_pk_mul_f32 v[100:101], v[36:37], v[100:101]              // 000000008D1C: D3B14064 1802C924
	v_pk_mul_f32 v[102:103], v[36:37], v[102:103]              // 000000008D24: D3B14066 1802CD24
	v_pk_mul_f32 v[104:105], v[36:37], v[104:105]              // 000000008D2C: D3B14068 1802D124
	v_pk_mul_f32 v[106:107], v[36:37], v[106:107]              // 000000008D34: D3B1406A 1802D524
	v_pk_mul_f32 v[108:109], v[36:37], v[108:109]              // 000000008D3C: D3B1406C 1802D924
	v_pk_mul_f32 v[110:111], v[36:37], v[110:111]              // 000000008D44: D3B1406E 1802DD24
	v_pk_mul_f32 v[112:113], v[36:37], v[112:113]              // 000000008D4C: D3B14070 1802E124
	v_pk_mul_f32 v[114:115], v[36:37], v[114:115]              // 000000008D54: D3B14072 1802E524
	v_pk_mul_f32 v[116:117], v[36:37], v[116:117]              // 000000008D5C: D3B14074 1802E924
	v_pk_mul_f32 v[118:119], v[36:37], v[118:119]              // 000000008D64: D3B14076 1802ED24
	v_pk_mul_f32 v[120:121], v[36:37], v[120:121]              // 000000008D6C: D3B14078 1802F124
	v_pk_mul_f32 v[122:123], v[36:37], v[122:123]              // 000000008D74: D3B1407A 1802F524
	v_pk_mul_f32 v[124:125], v[36:37], v[124:125]              // 000000008D7C: D3B1407C 1802F924
	v_pk_mul_f32 v[126:127], v[36:37], v[126:127]              // 000000008D84: D3B1407E 1802FD24
	v_pk_mul_f32 v[128:129], v[36:37], v[128:129]              // 000000008D8C: D3B14080 18030124
	v_pk_mul_f32 v[130:131], v[36:37], v[130:131]              // 000000008D94: D3B14082 18030524
	v_pk_mul_f32 v[132:133], v[36:37], v[132:133]              // 000000008D9C: D3B14084 18030924
	v_pk_mul_f32 v[134:135], v[36:37], v[134:135]              // 000000008DA4: D3B14086 18030D24
	v_pk_mul_f32 v[136:137], v[36:37], v[136:137]              // 000000008DAC: D3B14088 18031124
	v_pk_mul_f32 v[138:139], v[36:37], v[138:139]              // 000000008DB4: D3B1408A 18031524
	v_pk_mul_f32 v[140:141], v[36:37], v[140:141]              // 000000008DBC: D3B1408C 18031924
	v_pk_mul_f32 v[142:143], v[36:37], v[142:143]              // 000000008DC4: D3B1408E 18031D24
	v_pk_mul_f32 v[144:145], v[36:37], v[144:145]              // 000000008DCC: D3B14090 18032124
	v_pk_mul_f32 v[146:147], v[36:37], v[146:147]              // 000000008DD4: D3B14092 18032524
	v_pk_mul_f32 v[148:149], v[36:37], v[148:149]              // 000000008DDC: D3B14094 18032924
	v_pk_mul_f32 v[150:151], v[36:37], v[150:151]              // 000000008DE4: D3B14096 18032D24
	v_pk_mul_f32 v[152:153], v[36:37], v[152:153]              // 000000008DEC: D3B14098 18033124
	v_pk_mul_f32 v[154:155], v[36:37], v[154:155]              // 000000008DF4: D3B1409A 18033524
	v_pk_mul_f32 v[156:157], v[36:37], v[156:157]              // 000000008DFC: D3B1409C 18033924
	v_pk_mul_f32 v[158:159], v[36:37], v[158:159]              // 000000008E04: D3B1409E 18033D24
	v_pk_mul_f32 v[160:161], v[36:37], v[160:161]              // 000000008E0C: D3B140A0 18034124
	v_pk_mul_f32 v[162:163], v[36:37], v[162:163]              // 000000008E14: D3B140A2 18034524
	v_pk_mul_f32 v[164:165], v[36:37], v[164:165]              // 000000008E1C: D3B140A4 18034924
	v_pk_mul_f32 v[166:167], v[36:37], v[166:167]              // 000000008E24: D3B140A6 18034D24
	v_pk_mul_f32 v[168:169], v[36:37], v[168:169]              // 000000008E2C: D3B140A8 18035124
	v_pk_mul_f32 v[170:171], v[36:37], v[170:171]              // 000000008E34: D3B140AA 18035524
	v_pk_mul_f32 v[172:173], v[36:37], v[172:173]              // 000000008E3C: D3B140AC 18035924
	v_pk_mul_f32 v[174:175], v[36:37], v[174:175]              // 000000008E44: D3B140AE 18035D24
	v_pk_mul_f32 v[176:177], v[36:37], v[176:177]              // 000000008E4C: D3B140B0 18036124
	v_pk_mul_f32 v[178:179], v[36:37], v[178:179]              // 000000008E54: D3B140B2 18036524
	v_pk_mul_f32 v[180:181], v[36:37], v[180:181]              // 000000008E5C: D3B140B4 18036924
	v_pk_mul_f32 v[182:183], v[36:37], v[182:183]              // 000000008E64: D3B140B6 18036D24
	v_pk_mul_f32 v[184:185], v[36:37], v[184:185]              // 000000008E6C: D3B140B8 18037124
	v_pk_mul_f32 v[186:187], v[36:37], v[186:187]              // 000000008E74: D3B140BA 18037524
	v_pk_mul_f32 v[188:189], v[36:37], v[188:189]              // 000000008E7C: D3B140BC 18037924
	v_pk_mul_f32 v[190:191], v[36:37], v[190:191]              // 000000008E84: D3B140BE 18037D24
	v_pk_mul_f32 v[192:193], v[36:37], v[192:193]              // 000000008E8C: D3B140C0 18038124
	v_pk_mul_f32 v[194:195], v[36:37], v[194:195]              // 000000008E94: D3B140C2 18038524
	v_pk_mul_f32 v[196:197], v[36:37], v[196:197]              // 000000008E9C: D3B140C4 18038924
	v_pk_mul_f32 v[198:199], v[36:37], v[198:199]              // 000000008EA4: D3B140C6 18038D24
	v_pk_mul_f32 v[200:201], v[36:37], v[200:201]              // 000000008EAC: D3B140C8 18039124
	v_pk_mul_f32 v[202:203], v[36:37], v[202:203]              // 000000008EB4: D3B140CA 18039524
	s_waitcnt vmcnt(0)                                         // 000000008EBC: BF8C0F70
	s_barrier                                                  // 000000008EC0: BF8A0000
	v_mfma_f32_32x32x64_f8f6f4 v[76:91], a[72:79], v[44:51], v[76:91]// 000000008EC4: D3AE004C 0D325948
	ds_read_b128 a[72:75], v22                                 // 000000008ECC: DBFE0000 48000016
	ds_read_b128 a[76:79], v23                                 // 000000008ED4: DBFE0000 4C000017
	v_mfma_f32_32x32x64_f8f6f4 v[92:107], a[80:87], v[44:51], v[92:107]// 000000008EDC: D3AE005C 0D725950
	ds_read_b128 a[80:83], v22 offset:1024                     // 000000008EE4: DBFE0400 50000016
	ds_read_b128 a[84:87], v23 offset:1024                     // 000000008EEC: DBFE0400 54000017
	v_mfma_f32_32x32x64_f8f6f4 v[108:123], a[88:95], v[44:51], v[108:123]// 000000008EF4: D3AE006C 0DB25958
	ds_read_b128 a[88:91], v22 offset:2048                     // 000000008EFC: DBFE0800 58000016
	ds_read_b128 a[92:95], v23 offset:2048                     // 000000008F04: DBFE0800 5C000017
	v_mfma_f32_32x32x64_f8f6f4 v[124:139], a[96:103], v[44:51], v[124:139]// 000000008F0C: D3AE007C 0DF25960
	ds_read_b128 a[96:99], v22 offset:3072                     // 000000008F14: DBFE0C00 60000016
	ds_read_b128 a[100:103], v23 offset:3072                   // 000000008F1C: DBFE0C00 64000017
	v_mfma_f32_32x32x64_f8f6f4 v[140:155], a[104:111], v[44:51], v[140:155]// 000000008F24: D3AE008C 0E325968
	ds_read_b128 a[104:107], v22 offset:4096                   // 000000008F2C: DBFE1000 68000016
	ds_read_b128 a[108:111], v23 offset:4096                   // 000000008F34: DBFE1000 6C000017
	v_mfma_f32_32x32x64_f8f6f4 v[156:171], a[112:119], v[44:51], v[156:171]// 000000008F3C: D3AE009C 0E725970
	ds_read_b128 a[112:115], v22 offset:5120                   // 000000008F44: DBFE1400 70000016
	ds_read_b128 a[116:119], v23 offset:5120                   // 000000008F4C: DBFE1400 74000017
	v_mfma_f32_32x32x64_f8f6f4 v[172:187], a[120:127], v[44:51], v[172:187]// 000000008F54: D3AE00AC 0EB25978
	ds_read_b128 a[120:123], v22 offset:6144                   // 000000008F5C: DBFE1800 78000016
	ds_read_b128 a[124:127], v23 offset:6144                   // 000000008F64: DBFE1800 7C000017
	v_mfma_f32_32x32x64_f8f6f4 v[188:203], a[128:135], v[44:51], v[188:203]// 000000008F6C: D3AE00BC 0EF25980
	ds_read_b128 a[128:131], v22 offset:7168                   // 000000008F74: DBFE1C00 80000016
	ds_read_b128 a[132:135], v23 offset:7168                   // 000000008F7C: DBFE1C00 84000017
	ds_read_b128 a[136:139], v22 offset:8192                   // 000000008F84: DBFE2000 88000016
	ds_read_b128 a[140:143], v23 offset:8192                   // 000000008F8C: DBFE2000 8C000017
	s_branch label_7600                                        // 000000008F94: BF82025A

0000000000008f98 <label_6C98>:
	s_mov_b32 s56, 64                                          // 000000008F98: BEB800C0
	s_mul_i32 s83, s56, s71                                    // 000000008F9C: 92534738
	s_cmp_le_i32 s83, s82                                      // 000000008FA0: BF055253
	s_cbranch_scc1 label_6E8C                                  // 000000008FA4: BF850079
	s_mov_b32 s36, 0xffff0000                                  // 000000008FA8: BEA400FF FFFF0000
	s_mov_b32 s37, 0xffff0000                                  // 000000008FB0: BEA500FF FFFF0000
	v_mov_b32_e32 v36, s82                                     // 000000008FB8: 7E480252
	s_add_i32 s56, s82, 1                                      // 000000008FBC: 81388152
	v_mov_b32_e32 v37, s56                                     // 000000008FC0: 7E4A0238
	v_cndmask_b32_e64 v35, v36, v37, s[36:37]                  // 000000008FC4: D1000023 00924B24
	s_and_b32 s56, 2, s7                                       // 000000008FCC: 86380782
	v_add_i32 v35, s56, v35                                    // 000000008FD0: D29C0023 00024638
	s_sub_u32 s56, s83, 64                                     // 000000008FD8: 80B8C053
	v_lshrrev_b32_e32 v204, 5, v0                              // 000000008FDC: 21980085
	v_mul_i32_i24_e32 v204, 4, v204                            // 000000008FE0: 0D999884
	v_add_u32_e32 v204, s56, v204                              // 000000008FE4: 69999838
	s_and_b32 s56, s7, 1                                       // 000000008FE8: 86388107
	s_mov_b32 s57, 32                                          // 000000008FEC: BEB900A0
	s_mul_i32 s56, s57, s56                                    // 000000008FF0: 92383839
	v_add_u32_e32 v204, s56, v204                              // 000000008FF4: 69999838
	v_add_u32_e32 v205, 1, v204                                // 000000008FF8: 699B9881
	v_add_u32_e32 v206, 2, v204                                // 000000008FFC: 699D9882
	v_add_u32_e32 v207, 3, v204                                // 000000009000: 699F9883
	v_mov_b32_e32 v37, 0xff800000                              // 000000009004: 7E4A02FF FF800000
	v_cmp_le_i32_e64 s[36:37], v204, v35                       // 00000000900C: D0C30024 000247CC
	s_nop 0                                                    // 000000009014: BF800000
	v_cndmask_b32_e64 v60, v37, v60, s[36:37]                  // 000000009018: D100003C 00927925
	v_add_u32_e32 v204, 8, v204                                // 000000009020: 69999888
	v_cmp_le_i32_e64 s[36:37], v205, v35                       // 000000009024: D0C30024 000247CD
	s_nop 0                                                    // 00000000902C: BF800000
	v_cndmask_b32_e64 v61, v37, v61, s[36:37]                  // 000000009030: D100003D 00927B25
	v_add_u32_e32 v205, 8, v205                                // 000000009038: 699B9A88
	v_cmp_le_i32_e64 s[36:37], v206, v35                       // 00000000903C: D0C30024 000247CE
	s_nop 0                                                    // 000000009044: BF800000
	v_cndmask_b32_e64 v62, v37, v62, s[36:37]                  // 000000009048: D100003E 00927D25
	v_add_u32_e32 v206, 8, v206                                // 000000009050: 699D9C88
	v_cmp_le_i32_e64 s[36:37], v207, v35                       // 000000009054: D0C30024 000247CF
	s_nop 0                                                    // 00000000905C: BF800000
	v_cndmask_b32_e64 v63, v37, v63, s[36:37]                  // 000000009060: D100003F 00927F25
	v_add_u32_e32 v207, 8, v207                                // 000000009068: 699F9E88
	v_cmp_le_i32_e64 s[36:37], v204, v35                       // 00000000906C: D0C30024 000247CC
	s_nop 0                                                    // 000000009074: BF800000
	v_cndmask_b32_e64 v64, v37, v64, s[36:37]                  // 000000009078: D1000040 00928125
	v_add_u32_e32 v204, 8, v204                                // 000000009080: 69999888
	v_cmp_le_i32_e64 s[36:37], v205, v35                       // 000000009084: D0C30024 000247CD
	s_nop 0                                                    // 00000000908C: BF800000
	v_cndmask_b32_e64 v65, v37, v65, s[36:37]                  // 000000009090: D1000041 00928325
	v_add_u32_e32 v205, 8, v205                                // 000000009098: 699B9A88
	v_cmp_le_i32_e64 s[36:37], v206, v35                       // 00000000909C: D0C30024 000247CE
	s_nop 0                                                    // 0000000090A4: BF800000
	v_cndmask_b32_e64 v66, v37, v66, s[36:37]                  // 0000000090A8: D1000042 00928525
	v_add_u32_e32 v206, 8, v206                                // 0000000090B0: 699D9C88
	v_cmp_le_i32_e64 s[36:37], v207, v35                       // 0000000090B4: D0C30024 000247CF
	s_nop 0                                                    // 0000000090BC: BF800000
	v_cndmask_b32_e64 v67, v37, v67, s[36:37]                  // 0000000090C0: D1000043 00928725
	v_add_u32_e32 v207, 8, v207                                // 0000000090C8: 699F9E88
	v_cmp_le_i32_e64 s[36:37], v204, v35                       // 0000000090CC: D0C30024 000247CC
	s_nop 0                                                    // 0000000090D4: BF800000
	v_cndmask_b32_e64 v68, v37, v68, s[36:37]                  // 0000000090D8: D1000044 00928925
	v_add_u32_e32 v204, 8, v204                                // 0000000090E0: 69999888
	v_cmp_le_i32_e64 s[36:37], v205, v35                       // 0000000090E4: D0C30024 000247CD
	s_nop 0                                                    // 0000000090EC: BF800000
	v_cndmask_b32_e64 v69, v37, v69, s[36:37]                  // 0000000090F0: D1000045 00928B25
	v_add_u32_e32 v205, 8, v205                                // 0000000090F8: 699B9A88
	v_cmp_le_i32_e64 s[36:37], v206, v35                       // 0000000090FC: D0C30024 000247CE
	s_nop 0                                                    // 000000009104: BF800000
	v_cndmask_b32_e64 v70, v37, v70, s[36:37]                  // 000000009108: D1000046 00928D25
	v_add_u32_e32 v206, 8, v206                                // 000000009110: 699D9C88
	v_cmp_le_i32_e64 s[36:37], v207, v35                       // 000000009114: D0C30024 000247CF
	s_nop 0                                                    // 00000000911C: BF800000
	v_cndmask_b32_e64 v71, v37, v71, s[36:37]                  // 000000009120: D1000047 00928F25
	v_add_u32_e32 v207, 8, v207                                // 000000009128: 699F9E88
	v_cmp_le_i32_e64 s[36:37], v204, v35                       // 00000000912C: D0C30024 000247CC
	s_nop 0                                                    // 000000009134: BF800000
	v_cndmask_b32_e64 v72, v37, v72, s[36:37]                  // 000000009138: D1000048 00929125
	v_add_u32_e32 v204, 8, v204                                // 000000009140: 69999888
	v_cmp_le_i32_e64 s[36:37], v205, v35                       // 000000009144: D0C30024 000247CD
	s_nop 0                                                    // 00000000914C: BF800000
	v_cndmask_b32_e64 v73, v37, v73, s[36:37]                  // 000000009150: D1000049 00929325
	v_add_u32_e32 v205, 8, v205                                // 000000009158: 699B9A88
	v_cmp_le_i32_e64 s[36:37], v206, v35                       // 00000000915C: D0C30024 000247CE
	s_nop 0                                                    // 000000009164: BF800000
	v_cndmask_b32_e64 v74, v37, v74, s[36:37]                  // 000000009168: D100004A 00929525
	v_add_u32_e32 v206, 8, v206                                // 000000009170: 699D9C88
	v_cmp_le_i32_e64 s[36:37], v207, v35                       // 000000009174: D0C30024 000247CF
	s_nop 0                                                    // 00000000917C: BF800000
	v_cndmask_b32_e64 v75, v37, v75, s[36:37]                  // 000000009180: D100004B 00929725
	v_add_u32_e32 v207, 8, v207                                // 000000009188: 699F9E88

000000000000918c <label_6E8C>:
	s_add_u32 s83, s84, s83                                    // 00000000918C: 80535354
	s_nop 2                                                    // 000000009190: BF800002
	v_mov_b32_e32 v213, v60                                    // 000000009194: 7FAA033C
	v_max3_f32 v213, v60, v61, v213                            // 000000009198: D1D300D5 07567B3C
	v_max3_f32 v213, v62, v63, v213                            // 0000000091A0: D1D300D5 07567F3E
	v_max3_f32 v213, v64, v65, v213                            // 0000000091A8: D1D300D5 07568340
	v_max3_f32 v213, v66, v67, v213                            // 0000000091B0: D1D300D5 07568742
	v_max3_f32 v213, v68, v69, v213                            // 0000000091B8: D1D300D5 07568B44
	v_max3_f32 v213, v70, v71, v213                            // 0000000091C0: D1D300D5 07568F46
	v_max3_f32 v213, v72, v73, v213                            // 0000000091C8: D1D300D5 07569348
	v_max3_f32 v213, v74, v75, v213                            // 0000000091D0: D1D300D5 0756974A
	v_mov_b32_e32 v35, v213                                    // 0000000091D8: 7E4603D5
	v_mov_b32_e32 v36, v213                                    // 0000000091DC: 7E4803D5
	s_nop 1                                                    // 0000000091E0: BF800001
	v_permlane32_swap_b32_e32 v35, v36                         // 0000000091E4: 7E46B524
	v_max3_f32 v213, v35, v36, v213                            // 0000000091E8: D1D300D5 07564923
	ds_write_b32 v41, v213                                     // 0000000091F0: D81A0000 0000D529
	s_waitcnt lgkmcnt(0)                                       // 0000000091F8: BF8CC07F
	s_barrier                                                  // 0000000091FC: BF8A0000
	ds_read_b32 v35, v40                                       // 000000009200: D86C0000 23000028
	ds_read_b32 v36, v40 offset:256                            // 000000009208: D86C0100 24000028
	s_waitcnt lgkmcnt(0)                                       // 000000009210: BF8CC07F
	v_max3_f32 v213, v35, v36, v213                            // 000000009214: D1D300D5 07564923
	v_mov_b32_e32 v35, 0xff800000                              // 00000000921C: 7E4602FF FF800000
	v_cmp_eq_u32_e64 s[36:37], v35, v2                         // 000000009224: D0CA0024 00020523
	v_max_f32_e32 v216, v213, v2                               // 00000000922C: 17B005D5
	v_sub_f32_e32 v21, v2, v216                                // 000000009230: 042BB102
	v_cndmask_b32_e64 v21, v21, 0, s[36:37]                    // 000000009234: D1000015 00910115
	v_mov_b32_e32 v2, v216                                     // 00000000923C: 7E0403D8
	v_mul_f32_e32 v212, s5, v216                               // 000000009240: 0BA9B005
	v_mul_f32_e32 v21, s5, v21                                 // 000000009244: 0A2A2A05
	v_exp_f32_e32 v21, v21                                     // 000000009248: 7E2A4115
	v_fma_f32 v60, v60, s5, -v212                              // 00000000924C: D1CB003C 87500B3C
	v_fma_f32 v61, v61, s5, -v212                              // 000000009254: D1CB003D 87500B3D
	v_fma_f32 v62, v62, s5, -v212                              // 00000000925C: D1CB003E 87500B3E
	v_fma_f32 v63, v63, s5, -v212                              // 000000009264: D1CB003F 87500B3F
	v_fma_f32 v64, v64, s5, -v212                              // 00000000926C: D1CB0040 87500B40
	v_fma_f32 v65, v65, s5, -v212                              // 000000009274: D1CB0041 87500B41
	v_fma_f32 v66, v66, s5, -v212                              // 00000000927C: D1CB0042 87500B42
	v_fma_f32 v67, v67, s5, -v212                              // 000000009284: D1CB0043 87500B43
	v_fma_f32 v68, v68, s5, -v212                              // 00000000928C: D1CB0044 87500B44
	v_fma_f32 v69, v69, s5, -v212                              // 000000009294: D1CB0045 87500B45
	v_fma_f32 v70, v70, s5, -v212                              // 00000000929C: D1CB0046 87500B46
	v_fma_f32 v71, v71, s5, -v212                              // 0000000092A4: D1CB0047 87500B47
	v_fma_f32 v72, v72, s5, -v212                              // 0000000092AC: D1CB0048 87500B48
	v_fma_f32 v73, v73, s5, -v212                              // 0000000092B4: D1CB0049 87500B49
	v_fma_f32 v74, v74, s5, -v212                              // 0000000092BC: D1CB004A 87500B4A
	v_fma_f32 v75, v75, s5, -v212                              // 0000000092C4: D1CB004B 87500B4B
	v_mov_b32_e32 v35, 0xffc00000                              // 0000000092CC: 7E4602FF FFC00000
	v_exp_f32_e32 v60, v60                                     // 0000000092D4: 7E78413C
	v_exp_f32_e32 v61, v61                                     // 0000000092D8: 7E7A413D
	v_exp_f32_e32 v62, v62                                     // 0000000092DC: 7E7C413E
	v_exp_f32_e32 v63, v63                                     // 0000000092E0: 7E7E413F
	v_exp_f32_e32 v64, v64                                     // 0000000092E4: 7E804140
	v_exp_f32_e32 v65, v65                                     // 0000000092E8: 7E824141
	v_exp_f32_e32 v66, v66                                     // 0000000092EC: 7E844142
	v_exp_f32_e32 v67, v67                                     // 0000000092F0: 7E864143
	v_exp_f32_e32 v68, v68                                     // 0000000092F4: 7E884144
	v_exp_f32_e32 v69, v69                                     // 0000000092F8: 7E8A4145
	v_exp_f32_e32 v70, v70                                     // 0000000092FC: 7E8C4146
	v_exp_f32_e32 v71, v71                                     // 000000009300: 7E8E4147
	v_exp_f32_e32 v72, v72                                     // 000000009304: 7E904148
	v_exp_f32_e32 v73, v73                                     // 000000009308: 7E924149
	v_exp_f32_e32 v74, v74                                     // 00000000930C: 7E94414A
	v_exp_f32_e32 v75, v75                                     // 000000009310: 7E96414B
	v_mul_f32_e32 v4, v21, v4                                  // 000000009314: 0A080915
	v_mov_b32_e32 v35, v60                                     // 000000009318: 7E46033C
	v_add_f32_e32 v35, v61, v35                                // 00000000931C: 0246473D
	v_add_f32_e32 v35, v62, v35                                // 000000009320: 0246473E
	v_add_f32_e32 v35, v63, v35                                // 000000009324: 0246473F
	v_add_f32_e32 v35, v64, v35                                // 000000009328: 02464740
	v_add_f32_e32 v35, v65, v35                                // 00000000932C: 02464741
	v_add_f32_e32 v35, v66, v35                                // 000000009330: 02464742
	v_add_f32_e32 v35, v67, v35                                // 000000009334: 02464743
	;; [unrolled: 1-line block ×3, first 2 shown]
	v_add_f32_e32 v35, v69, v35                                // 00000000933C: 02464745
	v_add_f32_e32 v35, v70, v35                                // 000000009340: 02464746
	v_add_f32_e32 v35, v71, v35                                // 000000009344: 02464747
	;; [unrolled: 1-line block ×3, first 2 shown]
	v_add_f32_e32 v35, v73, v35                                // 00000000934C: 02464749
	v_add_f32_e32 v35, v74, v35                                // 000000009350: 0246474A
	v_add_f32_e32 v35, v75, v35                                // 000000009354: 0246474B
	v_add_f32_e32 v4, v35, v4                                  // 000000009358: 02080923
	v_cvt_pk_fp8_f32 v60, v60, v61                             // 00000000935C: D2A2003C 00027B3C
	v_cvt_pk_fp8_f32 v60, v62, v63 op_sel:[0,0,1]              // 000000009364: D2A2403C 00027F3E
	v_cvt_pk_fp8_f32 v61, v64, v65                             // 00000000936C: D2A2003D 00028340
	v_cvt_pk_fp8_f32 v61, v66, v67 op_sel:[0,0,1]              // 000000009374: D2A2403D 00028742
	v_cvt_pk_fp8_f32 v62, v68, v69                             // 00000000937C: D2A2003E 00028B44
	v_cvt_pk_fp8_f32 v62, v70, v71 op_sel:[0,0,1]              // 000000009384: D2A2403E 00028F46
	v_cvt_pk_fp8_f32 v63, v72, v73                             // 00000000938C: D2A2003F 00029348
	v_cvt_pk_fp8_f32 v63, v74, v75 op_sel:[0,0,1]              // 000000009394: D2A2403F 0002974A
	ds_write_b128 v43, v[60:63] offset:1024                    // 00000000939C: D9BE0400 00003C2B
	s_waitcnt lgkmcnt(0)                                       // 0000000093A4: BF8CC07F
	s_barrier                                                  // 0000000093A8: BF8A0000
	ds_read_b128 v[60:63], v42 offset:1024                     // 0000000093AC: D9FE0400 3C00002A
	ds_read_b128 v[64:67], v42 offset:2048                     // 0000000093B4: D9FE0800 4000002A
	s_waitcnt lgkmcnt(0)                                       // 0000000093BC: BF8CC07F
	v_permlane32_swap_b32_e32 v60, v62                         // 0000000093C0: 7E78B53E
	v_permlane32_swap_b32_e32 v61, v63                         // 0000000093C4: 7E7AB53F
	v_swap_b32 v61, v62                                        // 0000000093C8: 7E7AA33E
	v_permlane32_swap_b32_e32 v64, v66                         // 0000000093CC: 7E80B542
	v_permlane32_swap_b32_e32 v65, v67                         // 0000000093D0: 7E82B543
	v_swap_b32 v65, v66                                        // 0000000093D4: 7E82A342
	ds_read_b64_tr_b8 a[72:73], v17                            // 0000000093D8: DBC40000 48000011
	ds_read_b64_tr_b8 a[74:75], v18                            // 0000000093E0: DBC40000 4A000012
	ds_read_b64_tr_b8 a[76:77], v17 offset:18432               // 0000000093E8: DBC44800 4C000011
	ds_read_b64_tr_b8 a[78:79], v18 offset:18432               // 0000000093F0: DBC44800 4E000012
	ds_read_b64_tr_b8 a[80:81], v19                            // 0000000093F8: DBC40000 50000013
	ds_read_b64_tr_b8 a[82:83], v20                            // 000000009400: DBC40000 52000014
	ds_read_b64_tr_b8 a[84:85], v19 offset:18432               // 000000009408: DBC44800 54000013
	ds_read_b64_tr_b8 a[86:87], v20 offset:18432               // 000000009410: DBC44800 56000014
	ds_read_b64_tr_b8 a[88:89], v17 offset:1024                // 000000009418: DBC40400 58000011
	ds_read_b64_tr_b8 a[90:91], v18 offset:1024                // 000000009420: DBC40400 5A000012
	ds_read_b64_tr_b8 a[92:93], v17 offset:19456               // 000000009428: DBC44C00 5C000011
	ds_read_b64_tr_b8 a[94:95], v18 offset:19456               // 000000009430: DBC44C00 5E000012
	ds_read_b64_tr_b8 a[96:97], v19 offset:1024                // 000000009438: DBC40400 60000013
	ds_read_b64_tr_b8 a[98:99], v20 offset:1024                // 000000009440: DBC40400 62000014
	ds_read_b64_tr_b8 a[100:101], v19 offset:19456             // 000000009448: DBC44C00 64000013
	ds_read_b64_tr_b8 a[102:103], v20 offset:19456             // 000000009450: DBC44C00 66000014
	ds_read_b64_tr_b8 a[104:105], v17 offset:2048              // 000000009458: DBC40800 68000011
	ds_read_b64_tr_b8 a[106:107], v18 offset:2048              // 000000009460: DBC40800 6A000012
	ds_read_b64_tr_b8 a[108:109], v17 offset:20480             // 000000009468: DBC45000 6C000011
	ds_read_b64_tr_b8 a[110:111], v18 offset:20480             // 000000009470: DBC45000 6E000012
	ds_read_b64_tr_b8 a[112:113], v19 offset:2048              // 000000009478: DBC40800 70000013
	ds_read_b64_tr_b8 a[114:115], v20 offset:2048              // 000000009480: DBC40800 72000014
	ds_read_b64_tr_b8 a[116:117], v19 offset:20480             // 000000009488: DBC45000 74000013
	ds_read_b64_tr_b8 a[118:119], v20 offset:20480             // 000000009490: DBC45000 76000014
	ds_read_b64_tr_b8 a[120:121], v17 offset:3072              // 000000009498: DBC40C00 78000011
	ds_read_b64_tr_b8 a[122:123], v18 offset:3072              // 0000000094A0: DBC40C00 7A000012
	ds_read_b64_tr_b8 a[124:125], v17 offset:21504             // 0000000094A8: DBC45400 7C000011
	ds_read_b64_tr_b8 a[126:127], v18 offset:21504             // 0000000094B0: DBC45400 7E000012
	ds_read_b64_tr_b8 a[128:129], v19 offset:3072              // 0000000094B8: DBC40C00 80000013
	ds_read_b64_tr_b8 a[130:131], v20 offset:3072              // 0000000094C0: DBC40C00 82000014
	ds_read_b64_tr_b8 a[132:133], v19 offset:21504             // 0000000094C8: DBC45400 84000013
	ds_read_b64_tr_b8 a[134:135], v20 offset:21504             // 0000000094D0: DBC45400 86000014
	s_waitcnt lgkmcnt(4)                                       // 0000000094D8: BF8CC47F
	v_mfma_f32_32x32x64_f8f6f4 v[76:91], a[72:79], v[44:51], v[76:91]// 0000000094DC: D3AE004C 0D325948
	ds_read_b64_tr_b8 a[72:73], v5                             // 0000000094E4: DBC40000 48000005
	ds_read_b64_tr_b8 a[74:75], v6                             // 0000000094EC: DBC40000 4A000006
	ds_read_b64_tr_b8 a[76:77], v5 offset:18432                // 0000000094F4: DBC44800 4C000005
	ds_read_b64_tr_b8 a[78:79], v6 offset:18432                // 0000000094FC: DBC44800 4E000006
	v_mfma_f32_32x32x64_f8f6f4 v[92:107], a[80:87], v[44:51], v[92:107]// 000000009504: D3AE005C 0D725950
	ds_read_b64_tr_b8 a[80:81], v7                             // 00000000950C: DBC40000 50000007
	ds_read_b64_tr_b8 a[82:83], v8                             // 000000009514: DBC40000 52000008
	ds_read_b64_tr_b8 a[84:85], v7 offset:18432                // 00000000951C: DBC44800 54000007
	ds_read_b64_tr_b8 a[86:87], v8 offset:18432                // 000000009524: DBC44800 56000008
	v_mfma_f32_32x32x64_f8f6f4 v[108:123], a[88:95], v[44:51], v[108:123]// 00000000952C: D3AE006C 0DB25958
	ds_read_b64_tr_b8 a[88:89], v5 offset:1024                 // 000000009534: DBC40400 58000005
	ds_read_b64_tr_b8 a[90:91], v6 offset:1024                 // 00000000953C: DBC40400 5A000006
	ds_read_b64_tr_b8 a[92:93], v5 offset:19456                // 000000009544: DBC44C00 5C000005
	ds_read_b64_tr_b8 a[94:95], v6 offset:19456                // 00000000954C: DBC44C00 5E000006
	v_mfma_f32_32x32x64_f8f6f4 v[124:139], a[96:103], v[44:51], v[124:139]// 000000009554: D3AE007C 0DF25960
	ds_read_b64_tr_b8 a[96:97], v7 offset:1024                 // 00000000955C: DBC40400 60000007
	ds_read_b64_tr_b8 a[98:99], v8 offset:1024                 // 000000009564: DBC40400 62000008
	ds_read_b64_tr_b8 a[100:101], v7 offset:19456              // 00000000956C: DBC44C00 64000007
	ds_read_b64_tr_b8 a[102:103], v8 offset:19456              // 000000009574: DBC44C00 66000008
	v_mfma_f32_32x32x64_f8f6f4 v[140:155], a[104:111], v[44:51], v[140:155]// 00000000957C: D3AE008C 0E325968
	ds_read_b64_tr_b8 a[104:105], v5 offset:2048               // 000000009584: DBC40800 68000005
	ds_read_b64_tr_b8 a[106:107], v6 offset:2048               // 00000000958C: DBC40800 6A000006
	ds_read_b64_tr_b8 a[108:109], v5 offset:20480              // 000000009594: DBC45000 6C000005
	ds_read_b64_tr_b8 a[110:111], v6 offset:20480              // 00000000959C: DBC45000 6E000006
	v_mfma_f32_32x32x64_f8f6f4 v[156:171], a[112:119], v[44:51], v[156:171]// 0000000095A4: D3AE009C 0E725970
	ds_read_b64_tr_b8 a[112:113], v7 offset:2048               // 0000000095AC: DBC40800 70000007
	ds_read_b64_tr_b8 a[114:115], v8 offset:2048               // 0000000095B4: DBC40800 72000008
	ds_read_b64_tr_b8 a[116:117], v7 offset:20480              // 0000000095BC: DBC45000 74000007
	ds_read_b64_tr_b8 a[118:119], v8 offset:20480              // 0000000095C4: DBC45000 76000008
	v_mfma_f32_32x32x64_f8f6f4 v[172:187], a[120:127], v[44:51], v[172:187]// 0000000095CC: D3AE00AC 0EB25978
	ds_read_b64_tr_b8 a[120:121], v5 offset:3072               // 0000000095D4: DBC40C00 78000005
	ds_read_b64_tr_b8 a[122:123], v6 offset:3072               // 0000000095DC: DBC40C00 7A000006
	ds_read_b64_tr_b8 a[124:125], v5 offset:21504              // 0000000095E4: DBC45400 7C000005
	ds_read_b64_tr_b8 a[126:127], v6 offset:21504              // 0000000095EC: DBC45400 7E000006
	v_mfma_f32_32x32x64_f8f6f4 v[188:203], a[128:135], v[44:51], v[188:203]// 0000000095F4: D3AE00BC 0EF25980
	ds_read_b64_tr_b8 a[128:129], v7 offset:3072               // 0000000095FC: DBC40C00 80000007
	ds_read_b64_tr_b8 a[130:131], v8 offset:3072               // 000000009604: DBC40C00 82000008
	ds_read_b64_tr_b8 a[132:133], v7 offset:21504              // 00000000960C: DBC45400 84000007
	ds_read_b64_tr_b8 a[134:135], v8 offset:21504              // 000000009614: DBC45400 86000008
	v_mov_b32_e32 v36, v21                                     // 00000000961C: 7E480315
	v_mov_b32_e32 v37, v21                                     // 000000009620: 7E4A0315
	v_pk_mul_f32 v[76:77], v[36:37], v[76:77]                  // 000000009624: D3B1404C 18029924
	v_pk_mul_f32 v[78:79], v[36:37], v[78:79]                  // 00000000962C: D3B1404E 18029D24
	v_pk_mul_f32 v[80:81], v[36:37], v[80:81]                  // 000000009634: D3B14050 1802A124
	v_pk_mul_f32 v[82:83], v[36:37], v[82:83]                  // 00000000963C: D3B14052 1802A524
	v_pk_mul_f32 v[84:85], v[36:37], v[84:85]                  // 000000009644: D3B14054 1802A924
	v_pk_mul_f32 v[86:87], v[36:37], v[86:87]                  // 00000000964C: D3B14056 1802AD24
	v_pk_mul_f32 v[88:89], v[36:37], v[88:89]                  // 000000009654: D3B14058 1802B124
	v_pk_mul_f32 v[90:91], v[36:37], v[90:91]                  // 00000000965C: D3B1405A 1802B524
	v_pk_mul_f32 v[92:93], v[36:37], v[92:93]                  // 000000009664: D3B1405C 1802B924
	v_pk_mul_f32 v[94:95], v[36:37], v[94:95]                  // 00000000966C: D3B1405E 1802BD24
	v_pk_mul_f32 v[96:97], v[36:37], v[96:97]                  // 000000009674: D3B14060 1802C124
	v_pk_mul_f32 v[98:99], v[36:37], v[98:99]                  // 00000000967C: D3B14062 1802C524
	v_pk_mul_f32 v[100:101], v[36:37], v[100:101]              // 000000009684: D3B14064 1802C924
	v_pk_mul_f32 v[102:103], v[36:37], v[102:103]              // 00000000968C: D3B14066 1802CD24
	v_pk_mul_f32 v[104:105], v[36:37], v[104:105]              // 000000009694: D3B14068 1802D124
	v_pk_mul_f32 v[106:107], v[36:37], v[106:107]              // 00000000969C: D3B1406A 1802D524
	v_pk_mul_f32 v[108:109], v[36:37], v[108:109]              // 0000000096A4: D3B1406C 1802D924
	v_pk_mul_f32 v[110:111], v[36:37], v[110:111]              // 0000000096AC: D3B1406E 1802DD24
	v_pk_mul_f32 v[112:113], v[36:37], v[112:113]              // 0000000096B4: D3B14070 1802E124
	v_pk_mul_f32 v[114:115], v[36:37], v[114:115]              // 0000000096BC: D3B14072 1802E524
	v_pk_mul_f32 v[116:117], v[36:37], v[116:117]              // 0000000096C4: D3B14074 1802E924
	v_pk_mul_f32 v[118:119], v[36:37], v[118:119]              // 0000000096CC: D3B14076 1802ED24
	v_pk_mul_f32 v[120:121], v[36:37], v[120:121]              // 0000000096D4: D3B14078 1802F124
	v_pk_mul_f32 v[122:123], v[36:37], v[122:123]              // 0000000096DC: D3B1407A 1802F524
	v_pk_mul_f32 v[124:125], v[36:37], v[124:125]              // 0000000096E4: D3B1407C 1802F924
	v_pk_mul_f32 v[126:127], v[36:37], v[126:127]              // 0000000096EC: D3B1407E 1802FD24
	v_pk_mul_f32 v[128:129], v[36:37], v[128:129]              // 0000000096F4: D3B14080 18030124
	v_pk_mul_f32 v[130:131], v[36:37], v[130:131]              // 0000000096FC: D3B14082 18030524
	v_pk_mul_f32 v[132:133], v[36:37], v[132:133]              // 000000009704: D3B14084 18030924
	v_pk_mul_f32 v[134:135], v[36:37], v[134:135]              // 00000000970C: D3B14086 18030D24
	v_pk_mul_f32 v[136:137], v[36:37], v[136:137]              // 000000009714: D3B14088 18031124
	v_pk_mul_f32 v[138:139], v[36:37], v[138:139]              // 00000000971C: D3B1408A 18031524
	v_pk_mul_f32 v[140:141], v[36:37], v[140:141]              // 000000009724: D3B1408C 18031924
	v_pk_mul_f32 v[142:143], v[36:37], v[142:143]              // 00000000972C: D3B1408E 18031D24
	v_pk_mul_f32 v[144:145], v[36:37], v[144:145]              // 000000009734: D3B14090 18032124
	v_pk_mul_f32 v[146:147], v[36:37], v[146:147]              // 00000000973C: D3B14092 18032524
	v_pk_mul_f32 v[148:149], v[36:37], v[148:149]              // 000000009744: D3B14094 18032924
	v_pk_mul_f32 v[150:151], v[36:37], v[150:151]              // 00000000974C: D3B14096 18032D24
	v_pk_mul_f32 v[152:153], v[36:37], v[152:153]              // 000000009754: D3B14098 18033124
	v_pk_mul_f32 v[154:155], v[36:37], v[154:155]              // 00000000975C: D3B1409A 18033524
	v_pk_mul_f32 v[156:157], v[36:37], v[156:157]              // 000000009764: D3B1409C 18033924
	v_pk_mul_f32 v[158:159], v[36:37], v[158:159]              // 00000000976C: D3B1409E 18033D24
	v_pk_mul_f32 v[160:161], v[36:37], v[160:161]              // 000000009774: D3B140A0 18034124
	v_pk_mul_f32 v[162:163], v[36:37], v[162:163]              // 00000000977C: D3B140A2 18034524
	v_pk_mul_f32 v[164:165], v[36:37], v[164:165]              // 000000009784: D3B140A4 18034924
	v_pk_mul_f32 v[166:167], v[36:37], v[166:167]              // 00000000978C: D3B140A6 18034D24
	v_pk_mul_f32 v[168:169], v[36:37], v[168:169]              // 000000009794: D3B140A8 18035124
	v_pk_mul_f32 v[170:171], v[36:37], v[170:171]              // 00000000979C: D3B140AA 18035524
	v_pk_mul_f32 v[172:173], v[36:37], v[172:173]              // 0000000097A4: D3B140AC 18035924
	v_pk_mul_f32 v[174:175], v[36:37], v[174:175]              // 0000000097AC: D3B140AE 18035D24
	v_pk_mul_f32 v[176:177], v[36:37], v[176:177]              // 0000000097B4: D3B140B0 18036124
	v_pk_mul_f32 v[178:179], v[36:37], v[178:179]              // 0000000097BC: D3B140B2 18036524
	v_pk_mul_f32 v[180:181], v[36:37], v[180:181]              // 0000000097C4: D3B140B4 18036924
	v_pk_mul_f32 v[182:183], v[36:37], v[182:183]              // 0000000097CC: D3B140B6 18036D24
	v_pk_mul_f32 v[184:185], v[36:37], v[184:185]              // 0000000097D4: D3B140B8 18037124
	v_pk_mul_f32 v[186:187], v[36:37], v[186:187]              // 0000000097DC: D3B140BA 18037524
	v_pk_mul_f32 v[188:189], v[36:37], v[188:189]              // 0000000097E4: D3B140BC 18037924
	v_pk_mul_f32 v[190:191], v[36:37], v[190:191]              // 0000000097EC: D3B140BE 18037D24
	v_pk_mul_f32 v[192:193], v[36:37], v[192:193]              // 0000000097F4: D3B140C0 18038124
	v_pk_mul_f32 v[194:195], v[36:37], v[194:195]              // 0000000097FC: D3B140C2 18038524
	v_pk_mul_f32 v[196:197], v[36:37], v[196:197]              // 000000009804: D3B140C4 18038924
	v_pk_mul_f32 v[198:199], v[36:37], v[198:199]              // 00000000980C: D3B140C6 18038D24
	v_pk_mul_f32 v[200:201], v[36:37], v[200:201]              // 000000009814: D3B140C8 18039124
	v_pk_mul_f32 v[202:203], v[36:37], v[202:203]              // 00000000981C: D3B140CA 18039524
	s_waitcnt vmcnt(0)                                         // 000000009824: BF8C0F70
	s_barrier                                                  // 000000009828: BF8A0000
	v_mfma_f32_32x32x64_f8f6f4 v[76:91], a[72:79], v[60:67], v[76:91]// 00000000982C: D3AE004C 0D327948
	ds_read_b128 a[72:75], v24                                 // 000000009834: DBFE0000 48000018
	ds_read_b128 a[76:79], v25                                 // 00000000983C: DBFE0000 4C000019
	v_mfma_f32_32x32x64_f8f6f4 v[92:107], a[80:87], v[60:67], v[92:107]// 000000009844: D3AE005C 0D727950
	ds_read_b128 a[80:83], v24 offset:1024                     // 00000000984C: DBFE0400 50000018
	ds_read_b128 a[84:87], v25 offset:1024                     // 000000009854: DBFE0400 54000019
	v_mfma_f32_32x32x64_f8f6f4 v[108:123], a[88:95], v[60:67], v[108:123]// 00000000985C: D3AE006C 0DB27958
	ds_read_b128 a[88:91], v24 offset:2048                     // 000000009864: DBFE0800 58000018
	ds_read_b128 a[92:95], v25 offset:2048                     // 00000000986C: DBFE0800 5C000019
	v_mfma_f32_32x32x64_f8f6f4 v[124:139], a[96:103], v[60:67], v[124:139]// 000000009874: D3AE007C 0DF27960
	ds_read_b128 a[96:99], v24 offset:3072                     // 00000000987C: DBFE0C00 60000018
	ds_read_b128 a[100:103], v25 offset:3072                   // 000000009884: DBFE0C00 64000019
	v_mfma_f32_32x32x64_f8f6f4 v[140:155], a[104:111], v[60:67], v[140:155]// 00000000988C: D3AE008C 0E327968
	ds_read_b128 a[104:107], v24 offset:4096                   // 000000009894: DBFE1000 68000018
	ds_read_b128 a[108:111], v25 offset:4096                   // 00000000989C: DBFE1000 6C000019
	v_mfma_f32_32x32x64_f8f6f4 v[156:171], a[112:119], v[60:67], v[156:171]// 0000000098A4: D3AE009C 0E727970
	ds_read_b128 a[112:115], v24 offset:5120                   // 0000000098AC: DBFE1400 70000018
	ds_read_b128 a[116:119], v25 offset:5120                   // 0000000098B4: DBFE1400 74000019
	v_mfma_f32_32x32x64_f8f6f4 v[172:187], a[120:127], v[60:67], v[172:187]// 0000000098BC: D3AE00AC 0EB27978
	ds_read_b128 a[120:123], v24 offset:6144                   // 0000000098C4: DBFE1800 78000018
	ds_read_b128 a[124:127], v25 offset:6144                   // 0000000098CC: DBFE1800 7C000019
	v_mfma_f32_32x32x64_f8f6f4 v[188:203], a[128:135], v[60:67], v[188:203]// 0000000098D4: D3AE00BC 0EF27980
	ds_read_b128 a[128:131], v24 offset:7168                   // 0000000098DC: DBFE1C00 80000018
	ds_read_b128 a[132:135], v25 offset:7168                   // 0000000098E4: DBFE1C00 84000019
	ds_read_b128 a[136:139], v24 offset:8192                   // 0000000098EC: DBFE2000 88000018
	ds_read_b128 a[140:143], v25 offset:8192                   // 0000000098F4: DBFE2000 8C000019
	s_branch label_7600                                        // 0000000098FC: BF820000

0000000000009900 <label_7600>:
	s_cmp_eq_i32 s48, 0                                        // 000000009900: BF008030
	s_cbranch_scc1 label_9C4C                                  // 000000009904: BF850991

0000000000009908 <label_7608>:
	s_and_b32 s56, 3, s71                                      // 000000009908: 86384783
	s_cmp_eq_i32 s56, 1                                        // 00000000990C: BF008138
	s_cbranch_scc1 label_762C                                  // 000000009910: BF850006
	s_cmp_eq_i32 s56, 2                                        // 000000009914: BF008238
	s_cbranch_scc1 label_7FB4                                  // 000000009918: BF850266
	s_cmp_eq_i32 s56, 3                                        // 00000000991C: BF008338
	s_cbranch_scc1 label_893C                                  // 000000009920: BF8504C6
	s_cmp_eq_i32 s56, 0                                        // 000000009924: BF008038
	s_cbranch_scc1 label_92C4                                  // 000000009928: BF850726

000000000000992c <label_762C>:
	s_waitcnt lgkmcnt(4)                                       // 00000000992C: BF8CC47F
	v_mfma_f32_32x32x64_f8f6f4 v[60:75], a[72:79], a[0:7], 0   // 000000009930: D3AE003C 1A020148
	v_mfma_f32_32x32x64_f8f6f4 v[60:75], a[80:87], a[8:15], v[60:75]// 000000009938: D3AE003C 1CF21150
	v_mfma_f32_32x32x64_f8f6f4 v[60:75], a[88:95], a[16:23], v[60:75]// 000000009940: D3AE003C 1CF22158
	ds_read_b64_tr_b8 a[72:73], v13                            // 000000009948: DBC40000 4800000D
	ds_read_b64_tr_b8 a[74:75], v14                            // 000000009950: DBC40000 4A00000E
	ds_read_b64_tr_b8 a[76:77], v13 offset:18432               // 000000009958: DBC44800 4C00000D
	ds_read_b64_tr_b8 a[78:79], v14 offset:18432               // 000000009960: DBC44800 4E00000E
	v_mfma_f32_32x32x64_f8f6f4 v[60:75], a[96:103], a[24:31], v[60:75]// 000000009968: D3AE003C 1CF23160
	ds_read_b64_tr_b8 a[80:81], v15                            // 000000009970: DBC40000 5000000F
	ds_read_b64_tr_b8 a[82:83], v16                            // 000000009978: DBC40000 52000010
	ds_read_b64_tr_b8 a[84:85], v15 offset:18432               // 000000009980: DBC44800 5400000F
	ds_read_b64_tr_b8 a[86:87], v16 offset:18432               // 000000009988: DBC44800 56000010
	v_mfma_f32_32x32x64_f8f6f4 v[60:75], a[104:111], a[32:39], v[60:75]// 000000009990: D3AE003C 1CF24168
	ds_read_b64_tr_b8 a[88:89], v13 offset:1024                // 000000009998: DBC40400 5800000D
	ds_read_b64_tr_b8 a[90:91], v14 offset:1024                // 0000000099A0: DBC40400 5A00000E
	ds_read_b64_tr_b8 a[92:93], v13 offset:19456               // 0000000099A8: DBC44C00 5C00000D
	ds_read_b64_tr_b8 a[94:95], v14 offset:19456               // 0000000099B0: DBC44C00 5E00000E
	v_mfma_f32_32x32x64_f8f6f4 v[60:75], a[112:119], a[40:47], v[60:75]// 0000000099B8: D3AE003C 1CF25170
	ds_read_b64_tr_b8 a[96:97], v15 offset:1024                // 0000000099C0: DBC40400 6000000F
	ds_read_b64_tr_b8 a[98:99], v16 offset:1024                // 0000000099C8: DBC40400 62000010
	ds_read_b64_tr_b8 a[100:101], v15 offset:19456             // 0000000099D0: DBC44C00 6400000F
	ds_read_b64_tr_b8 a[102:103], v16 offset:19456             // 0000000099D8: DBC44C00 66000010
	v_mfma_f32_32x32x64_f8f6f4 v[60:75], a[120:127], a[48:55], v[60:75]// 0000000099E0: D3AE003C 1CF26178
	ds_read_b64_tr_b8 a[104:105], v13 offset:2048              // 0000000099E8: DBC40800 6800000D
	ds_read_b64_tr_b8 a[106:107], v14 offset:2048              // 0000000099F0: DBC40800 6A00000E
	ds_read_b64_tr_b8 a[108:109], v13 offset:20480             // 0000000099F8: DBC45000 6C00000D
	ds_read_b64_tr_b8 a[110:111], v14 offset:20480             // 000000009A00: DBC45000 6E00000E
	v_mfma_f32_32x32x64_f8f6f4 v[60:75], a[128:135], a[56:63], v[60:75]// 000000009A08: D3AE003C 1CF27180
	ds_read_b64_tr_b8 a[112:113], v15 offset:2048              // 000000009A10: DBC40800 7000000F
	ds_read_b64_tr_b8 a[114:115], v16 offset:2048              // 000000009A18: DBC40800 72000010
	ds_read_b64_tr_b8 a[116:117], v15 offset:20480             // 000000009A20: DBC45000 7400000F
	ds_read_b64_tr_b8 a[118:119], v16 offset:20480             // 000000009A28: DBC45000 76000010
	v_mfma_f32_32x32x64_f8f6f4 v[60:75], a[136:143], a[64:71], v[60:75]// 000000009A30: D3AE003C 1CF28188
	ds_read_b64_tr_b8 a[120:121], v13 offset:3072              // 000000009A38: DBC40C00 7800000D
	ds_read_b64_tr_b8 a[122:123], v14 offset:3072              // 000000009A40: DBC40C00 7A00000E
	ds_read_b64_tr_b8 a[124:125], v13 offset:21504             // 000000009A48: DBC45400 7C00000D
	ds_read_b64_tr_b8 a[126:127], v14 offset:21504             // 000000009A50: DBC45400 7E00000E
	ds_read_b64_tr_b8 a[128:129], v15 offset:3072              // 000000009A58: DBC40C00 8000000F
	ds_read_b64_tr_b8 a[130:131], v16 offset:3072              // 000000009A60: DBC40C00 82000010
	ds_read_b64_tr_b8 a[132:133], v15 offset:21504             // 000000009A68: DBC45400 8400000F
	ds_read_b64_tr_b8 a[134:135], v16 offset:21504             // 000000009A70: DBC45400 86000010
	s_cmp_le_i32 s83, s82                                      // 000000009A78: BF055253
	s_cbranch_scc1 label_7964                                  // 000000009A7C: BF850079
	s_mov_b32 s36, 0xffff0000                                  // 000000009A80: BEA400FF FFFF0000
	s_mov_b32 s37, 0xffff0000                                  // 000000009A88: BEA500FF FFFF0000
	v_mov_b32_e32 v36, s82                                     // 000000009A90: 7E480252
	s_add_i32 s56, s82, 1                                      // 000000009A94: 81388152
	v_mov_b32_e32 v37, s56                                     // 000000009A98: 7E4A0238
	v_cndmask_b32_e64 v35, v36, v37, s[36:37]                  // 000000009A9C: D1000023 00924B24
	s_and_b32 s56, 2, s7                                       // 000000009AA4: 86380782
	v_add_i32 v35, s56, v35                                    // 000000009AA8: D29C0023 00024638
	s_sub_u32 s56, s83, 64                                     // 000000009AB0: 80B8C053
	v_lshrrev_b32_e32 v204, 5, v0                              // 000000009AB4: 21980085
	v_mul_i32_i24_e32 v204, 4, v204                            // 000000009AB8: 0D999884
	v_add_u32_e32 v204, s56, v204                              // 000000009ABC: 69999838
	s_and_b32 s56, s7, 1                                       // 000000009AC0: 86388107
	s_mov_b32 s57, 32                                          // 000000009AC4: BEB900A0
	s_mul_i32 s56, s57, s56                                    // 000000009AC8: 92383839
	v_add_u32_e32 v204, s56, v204                              // 000000009ACC: 69999838
	v_add_u32_e32 v205, 1, v204                                // 000000009AD0: 699B9881
	v_add_u32_e32 v206, 2, v204                                // 000000009AD4: 699D9882
	v_add_u32_e32 v207, 3, v204                                // 000000009AD8: 699F9883
	v_mov_b32_e32 v37, 0xff800000                              // 000000009ADC: 7E4A02FF FF800000
	v_cmp_le_i32_e64 s[36:37], v204, v35                       // 000000009AE4: D0C30024 000247CC
	s_nop 0                                                    // 000000009AEC: BF800000
	v_cndmask_b32_e64 v60, v37, v60, s[36:37]                  // 000000009AF0: D100003C 00927925
	v_add_u32_e32 v204, 8, v204                                // 000000009AF8: 69999888
	v_cmp_le_i32_e64 s[36:37], v205, v35                       // 000000009AFC: D0C30024 000247CD
	s_nop 0                                                    // 000000009B04: BF800000
	v_cndmask_b32_e64 v61, v37, v61, s[36:37]                  // 000000009B08: D100003D 00927B25
	v_add_u32_e32 v205, 8, v205                                // 000000009B10: 699B9A88
	v_cmp_le_i32_e64 s[36:37], v206, v35                       // 000000009B14: D0C30024 000247CE
	s_nop 0                                                    // 000000009B1C: BF800000
	v_cndmask_b32_e64 v62, v37, v62, s[36:37]                  // 000000009B20: D100003E 00927D25
	v_add_u32_e32 v206, 8, v206                                // 000000009B28: 699D9C88
	v_cmp_le_i32_e64 s[36:37], v207, v35                       // 000000009B2C: D0C30024 000247CF
	s_nop 0                                                    // 000000009B34: BF800000
	v_cndmask_b32_e64 v63, v37, v63, s[36:37]                  // 000000009B38: D100003F 00927F25
	v_add_u32_e32 v207, 8, v207                                // 000000009B40: 699F9E88
	v_cmp_le_i32_e64 s[36:37], v204, v35                       // 000000009B44: D0C30024 000247CC
	s_nop 0                                                    // 000000009B4C: BF800000
	v_cndmask_b32_e64 v64, v37, v64, s[36:37]                  // 000000009B50: D1000040 00928125
	v_add_u32_e32 v204, 8, v204                                // 000000009B58: 69999888
	v_cmp_le_i32_e64 s[36:37], v205, v35                       // 000000009B5C: D0C30024 000247CD
	s_nop 0                                                    // 000000009B64: BF800000
	v_cndmask_b32_e64 v65, v37, v65, s[36:37]                  // 000000009B68: D1000041 00928325
	v_add_u32_e32 v205, 8, v205                                // 000000009B70: 699B9A88
	v_cmp_le_i32_e64 s[36:37], v206, v35                       // 000000009B74: D0C30024 000247CE
	s_nop 0                                                    // 000000009B7C: BF800000
	v_cndmask_b32_e64 v66, v37, v66, s[36:37]                  // 000000009B80: D1000042 00928525
	v_add_u32_e32 v206, 8, v206                                // 000000009B88: 699D9C88
	v_cmp_le_i32_e64 s[36:37], v207, v35                       // 000000009B8C: D0C30024 000247CF
	s_nop 0                                                    // 000000009B94: BF800000
	v_cndmask_b32_e64 v67, v37, v67, s[36:37]                  // 000000009B98: D1000043 00928725
	v_add_u32_e32 v207, 8, v207                                // 000000009BA0: 699F9E88
	v_cmp_le_i32_e64 s[36:37], v204, v35                       // 000000009BA4: D0C30024 000247CC
	s_nop 0                                                    // 000000009BAC: BF800000
	v_cndmask_b32_e64 v68, v37, v68, s[36:37]                  // 000000009BB0: D1000044 00928925
	v_add_u32_e32 v204, 8, v204                                // 000000009BB8: 69999888
	v_cmp_le_i32_e64 s[36:37], v205, v35                       // 000000009BBC: D0C30024 000247CD
	s_nop 0                                                    // 000000009BC4: BF800000
	v_cndmask_b32_e64 v69, v37, v69, s[36:37]                  // 000000009BC8: D1000045 00928B25
	v_add_u32_e32 v205, 8, v205                                // 000000009BD0: 699B9A88
	v_cmp_le_i32_e64 s[36:37], v206, v35                       // 000000009BD4: D0C30024 000247CE
	s_nop 0                                                    // 000000009BDC: BF800000
	v_cndmask_b32_e64 v70, v37, v70, s[36:37]                  // 000000009BE0: D1000046 00928D25
	v_add_u32_e32 v206, 8, v206                                // 000000009BE8: 699D9C88
	v_cmp_le_i32_e64 s[36:37], v207, v35                       // 000000009BEC: D0C30024 000247CF
	s_nop 0                                                    // 000000009BF4: BF800000
	v_cndmask_b32_e64 v71, v37, v71, s[36:37]                  // 000000009BF8: D1000047 00928F25
	v_add_u32_e32 v207, 8, v207                                // 000000009C00: 699F9E88
	v_cmp_le_i32_e64 s[36:37], v204, v35                       // 000000009C04: D0C30024 000247CC
	s_nop 0                                                    // 000000009C0C: BF800000
	v_cndmask_b32_e64 v72, v37, v72, s[36:37]                  // 000000009C10: D1000048 00929125
	v_add_u32_e32 v204, 8, v204                                // 000000009C18: 69999888
	v_cmp_le_i32_e64 s[36:37], v205, v35                       // 000000009C1C: D0C30024 000247CD
	s_nop 0                                                    // 000000009C24: BF800000
	v_cndmask_b32_e64 v73, v37, v73, s[36:37]                  // 000000009C28: D1000049 00929325
	v_add_u32_e32 v205, 8, v205                                // 000000009C30: 699B9A88
	v_cmp_le_i32_e64 s[36:37], v206, v35                       // 000000009C34: D0C30024 000247CE
	s_nop 0                                                    // 000000009C3C: BF800000
	v_cndmask_b32_e64 v74, v37, v74, s[36:37]                  // 000000009C40: D100004A 00929525
	v_add_u32_e32 v206, 8, v206                                // 000000009C48: 699D9C88
	v_cmp_le_i32_e64 s[36:37], v207, v35                       // 000000009C4C: D0C30024 000247CF
	s_nop 0                                                    // 000000009C54: BF800000
	v_cndmask_b32_e64 v75, v37, v75, s[36:37]                  // 000000009C58: D100004B 00929725
	v_add_u32_e32 v207, 8, v207                                // 000000009C60: 699F9E88

0000000000009c64 <label_7964>:
	s_and_b32 s56, s48, 0xff                                   // 000000009C64: 8638FF30 000000FF
	v_mov_b32_e32 v36, s56                                     // 000000009C6C: 7E480238
	v_lshrrev_b32_e32 v204, 5, v0                              // 000000009C70: 21980085
	v_mul_i32_i24_e32 v204, 4, v204                            // 000000009C74: 0D999884
	s_and_b32 s56, s7, 1                                       // 000000009C78: 86388107
	s_mov_b32 s57, 32                                          // 000000009C7C: BEB900A0
	s_mul_i32 s56, s57, s56                                    // 000000009C80: 92383839
	v_add_u32_e32 v204, s56, v204                              // 000000009C84: 69999838
	v_add_u32_e32 v205, 1, v204                                // 000000009C88: 699B9881
	v_add_u32_e32 v206, 2, v204                                // 000000009C8C: 699D9882
	v_add_u32_e32 v207, 3, v204                                // 000000009C90: 699F9883
	v_mov_b32_e32 v35, 0xff800000                              // 000000009C94: 7E4602FF FF800000
	v_cmp_lt_u32_e64 s[36:37], v204, v36                       // 000000009C9C: D0C90024 000249CC
	v_add_u32_e32 v204, 8, v204                                // 000000009CA4: 69999888
	s_nop 0                                                    // 000000009CA8: BF800000
	v_cndmask_b32_e64 v60, v35, v60, s[36:37]                  // 000000009CAC: D100003C 00927923
	v_cmp_lt_u32_e64 s[36:37], v205, v36                       // 000000009CB4: D0C90024 000249CD
	v_add_u32_e32 v205, 8, v205                                // 000000009CBC: 699B9A88
	s_nop 0                                                    // 000000009CC0: BF800000
	v_cndmask_b32_e64 v61, v35, v61, s[36:37]                  // 000000009CC4: D100003D 00927B23
	v_cmp_lt_u32_e64 s[36:37], v206, v36                       // 000000009CCC: D0C90024 000249CE
	v_add_u32_e32 v206, 8, v206                                // 000000009CD4: 699D9C88
	s_nop 0                                                    // 000000009CD8: BF800000
	v_cndmask_b32_e64 v62, v35, v62, s[36:37]                  // 000000009CDC: D100003E 00927D23
	v_cmp_lt_u32_e64 s[36:37], v207, v36                       // 000000009CE4: D0C90024 000249CF
	v_add_u32_e32 v207, 8, v207                                // 000000009CEC: 699F9E88
	s_nop 0                                                    // 000000009CF0: BF800000
	v_cndmask_b32_e64 v63, v35, v63, s[36:37]                  // 000000009CF4: D100003F 00927F23
	v_cmp_lt_u32_e64 s[36:37], v204, v36                       // 000000009CFC: D0C90024 000249CC
	v_add_u32_e32 v204, 8, v204                                // 000000009D04: 69999888
	s_nop 0                                                    // 000000009D08: BF800000
	v_cndmask_b32_e64 v64, v35, v64, s[36:37]                  // 000000009D0C: D1000040 00928123
	v_cmp_lt_u32_e64 s[36:37], v205, v36                       // 000000009D14: D0C90024 000249CD
	v_add_u32_e32 v205, 8, v205                                // 000000009D1C: 699B9A88
	s_nop 0                                                    // 000000009D20: BF800000
	v_cndmask_b32_e64 v65, v35, v65, s[36:37]                  // 000000009D24: D1000041 00928323
	v_cmp_lt_u32_e64 s[36:37], v206, v36                       // 000000009D2C: D0C90024 000249CE
	v_add_u32_e32 v206, 8, v206                                // 000000009D34: 699D9C88
	s_nop 0                                                    // 000000009D38: BF800000
	v_cndmask_b32_e64 v66, v35, v66, s[36:37]                  // 000000009D3C: D1000042 00928523
	v_cmp_lt_u32_e64 s[36:37], v207, v36                       // 000000009D44: D0C90024 000249CF
	v_add_u32_e32 v207, 8, v207                                // 000000009D4C: 699F9E88
	s_nop 0                                                    // 000000009D50: BF800000
	v_cndmask_b32_e64 v67, v35, v67, s[36:37]                  // 000000009D54: D1000043 00928723
	v_cmp_lt_u32_e64 s[36:37], v204, v36                       // 000000009D5C: D0C90024 000249CC
	v_add_u32_e32 v204, 8, v204                                // 000000009D64: 69999888
	s_nop 0                                                    // 000000009D68: BF800000
	v_cndmask_b32_e64 v68, v35, v68, s[36:37]                  // 000000009D6C: D1000044 00928923
	v_cmp_lt_u32_e64 s[36:37], v205, v36                       // 000000009D74: D0C90024 000249CD
	v_add_u32_e32 v205, 8, v205                                // 000000009D7C: 699B9A88
	s_nop 0                                                    // 000000009D80: BF800000
	v_cndmask_b32_e64 v69, v35, v69, s[36:37]                  // 000000009D84: D1000045 00928B23
	v_cmp_lt_u32_e64 s[36:37], v206, v36                       // 000000009D8C: D0C90024 000249CE
	v_add_u32_e32 v206, 8, v206                                // 000000009D94: 699D9C88
	s_nop 0                                                    // 000000009D98: BF800000
	v_cndmask_b32_e64 v70, v35, v70, s[36:37]                  // 000000009D9C: D1000046 00928D23
	v_cmp_lt_u32_e64 s[36:37], v207, v36                       // 000000009DA4: D0C90024 000249CF
	v_add_u32_e32 v207, 8, v207                                // 000000009DAC: 699F9E88
	s_nop 0                                                    // 000000009DB0: BF800000
	v_cndmask_b32_e64 v71, v35, v71, s[36:37]                  // 000000009DB4: D1000047 00928F23
	v_cmp_lt_u32_e64 s[36:37], v204, v36                       // 000000009DBC: D0C90024 000249CC
	v_add_u32_e32 v204, 8, v204                                // 000000009DC4: 69999888
	s_nop 0                                                    // 000000009DC8: BF800000
	v_cndmask_b32_e64 v72, v35, v72, s[36:37]                  // 000000009DCC: D1000048 00929123
	v_cmp_lt_u32_e64 s[36:37], v205, v36                       // 000000009DD4: D0C90024 000249CD
	v_add_u32_e32 v205, 8, v205                                // 000000009DDC: 699B9A88
	s_nop 0                                                    // 000000009DE0: BF800000
	v_cndmask_b32_e64 v73, v35, v73, s[36:37]                  // 000000009DE4: D1000049 00929323
	v_cmp_lt_u32_e64 s[36:37], v206, v36                       // 000000009DEC: D0C90024 000249CE
	v_add_u32_e32 v206, 8, v206                                // 000000009DF4: 699D9C88
	s_nop 0                                                    // 000000009DF8: BF800000
	v_cndmask_b32_e64 v74, v35, v74, s[36:37]                  // 000000009DFC: D100004A 00929523
	v_cmp_lt_u32_e64 s[36:37], v207, v36                       // 000000009E04: D0C90024 000249CF
	v_add_u32_e32 v207, 8, v207                                // 000000009E0C: 699F9E88
	s_nop 0                                                    // 000000009E10: BF800000
	v_cndmask_b32_e64 v75, v35, v75, s[36:37]                  // 000000009E14: D100004B 00929723
	s_nop 2                                                    // 000000009E1C: BF800002
	v_mov_b32_e32 v213, v60                                    // 000000009E20: 7FAA033C
	v_max3_f32 v213, v60, v61, v213                            // 000000009E24: D1D300D5 07567B3C
	v_max3_f32 v213, v62, v63, v213                            // 000000009E2C: D1D300D5 07567F3E
	v_max3_f32 v213, v64, v65, v213                            // 000000009E34: D1D300D5 07568340
	v_max3_f32 v213, v66, v67, v213                            // 000000009E3C: D1D300D5 07568742
	v_max3_f32 v213, v68, v69, v213                            // 000000009E44: D1D300D5 07568B44
	v_max3_f32 v213, v70, v71, v213                            // 000000009E4C: D1D300D5 07568F46
	v_max3_f32 v213, v72, v73, v213                            // 000000009E54: D1D300D5 07569348
	v_max3_f32 v213, v74, v75, v213                            // 000000009E5C: D1D300D5 0756974A
	v_mov_b32_e32 v35, v213                                    // 000000009E64: 7E4603D5
	v_mov_b32_e32 v36, v213                                    // 000000009E68: 7E4803D5
	s_nop 1                                                    // 000000009E6C: BF800001
	v_permlane32_swap_b32_e32 v35, v36                         // 000000009E70: 7E46B524
	v_max3_f32 v213, v35, v36, v213                            // 000000009E74: D1D300D5 07564923
	ds_write_b32 v41, v213                                     // 000000009E7C: D81A0000 0000D529
	s_waitcnt lgkmcnt(0)                                       // 000000009E84: BF8CC07F
	s_barrier                                                  // 000000009E88: BF8A0000
	ds_read_b32 v35, v40                                       // 000000009E8C: D86C0000 23000028
	ds_read_b32 v36, v40 offset:256                            // 000000009E94: D86C0100 24000028
	s_waitcnt lgkmcnt(0)                                       // 000000009E9C: BF8CC07F
	v_max3_f32 v213, v35, v36, v213                            // 000000009EA0: D1D300D5 07564923
	v_mov_b32_e32 v35, 0xff800000                              // 000000009EA8: 7E4602FF FF800000
	v_cmp_eq_u32_e64 s[36:37], v35, v2                         // 000000009EB0: D0CA0024 00020523
	v_max_f32_e32 v216, v213, v2                               // 000000009EB8: 17B005D5
	v_sub_f32_e32 v21, v2, v216                                // 000000009EBC: 042BB102
	v_cndmask_b32_e64 v21, v21, 0, s[36:37]                    // 000000009EC0: D1000015 00910115
	v_mov_b32_e32 v2, v216                                     // 000000009EC8: 7E0403D8
	v_mul_f32_e32 v212, s5, v216                               // 000000009ECC: 0BA9B005
	v_mul_f32_e32 v21, s5, v21                                 // 000000009ED0: 0A2A2A05
	v_exp_f32_e32 v21, v21                                     // 000000009ED4: 7E2A4115
	v_fma_f32 v60, v60, s5, -v212                              // 000000009ED8: D1CB003C 87500B3C
	v_fma_f32 v61, v61, s5, -v212                              // 000000009EE0: D1CB003D 87500B3D
	v_fma_f32 v62, v62, s5, -v212                              // 000000009EE8: D1CB003E 87500B3E
	v_fma_f32 v63, v63, s5, -v212                              // 000000009EF0: D1CB003F 87500B3F
	v_fma_f32 v64, v64, s5, -v212                              // 000000009EF8: D1CB0040 87500B40
	v_fma_f32 v65, v65, s5, -v212                              // 000000009F00: D1CB0041 87500B41
	v_fma_f32 v66, v66, s5, -v212                              // 000000009F08: D1CB0042 87500B42
	v_fma_f32 v67, v67, s5, -v212                              // 000000009F10: D1CB0043 87500B43
	v_fma_f32 v68, v68, s5, -v212                              // 000000009F18: D1CB0044 87500B44
	v_fma_f32 v69, v69, s5, -v212                              // 000000009F20: D1CB0045 87500B45
	v_fma_f32 v70, v70, s5, -v212                              // 000000009F28: D1CB0046 87500B46
	v_fma_f32 v71, v71, s5, -v212                              // 000000009F30: D1CB0047 87500B47
	v_fma_f32 v72, v72, s5, -v212                              // 000000009F38: D1CB0048 87500B48
	v_fma_f32 v73, v73, s5, -v212                              // 000000009F40: D1CB0049 87500B49
	v_fma_f32 v74, v74, s5, -v212                              // 000000009F48: D1CB004A 87500B4A
	v_fma_f32 v75, v75, s5, -v212                              // 000000009F50: D1CB004B 87500B4B
	v_mov_b32_e32 v35, 0xffc00000                              // 000000009F58: 7E4602FF FFC00000
	v_exp_f32_e32 v60, v60                                     // 000000009F60: 7E78413C
	v_exp_f32_e32 v61, v61                                     // 000000009F64: 7E7A413D
	v_exp_f32_e32 v62, v62                                     // 000000009F68: 7E7C413E
	v_exp_f32_e32 v63, v63                                     // 000000009F6C: 7E7E413F
	v_exp_f32_e32 v64, v64                                     // 000000009F70: 7E804140
	v_exp_f32_e32 v65, v65                                     // 000000009F74: 7E824141
	v_exp_f32_e32 v66, v66                                     // 000000009F78: 7E844142
	v_exp_f32_e32 v67, v67                                     // 000000009F7C: 7E864143
	v_exp_f32_e32 v68, v68                                     // 000000009F80: 7E884144
	v_exp_f32_e32 v69, v69                                     // 000000009F84: 7E8A4145
	v_exp_f32_e32 v70, v70                                     // 000000009F88: 7E8C4146
	v_exp_f32_e32 v71, v71                                     // 000000009F8C: 7E8E4147
	v_exp_f32_e32 v72, v72                                     // 000000009F90: 7E904148
	v_exp_f32_e32 v73, v73                                     // 000000009F94: 7E924149
	v_exp_f32_e32 v74, v74                                     // 000000009F98: 7E94414A
	v_exp_f32_e32 v75, v75                                     // 000000009F9C: 7E96414B
	v_mul_f32_e32 v4, v21, v4                                  // 000000009FA0: 0A080915
	v_mov_b32_e32 v35, v60                                     // 000000009FA4: 7E46033C
	v_add_f32_e32 v35, v61, v35                                // 000000009FA8: 0246473D
	v_add_f32_e32 v35, v62, v35                                // 000000009FAC: 0246473E
	v_add_f32_e32 v35, v63, v35                                // 000000009FB0: 0246473F
	v_add_f32_e32 v35, v64, v35                                // 000000009FB4: 02464740
	v_add_f32_e32 v35, v65, v35                                // 000000009FB8: 02464741
	v_add_f32_e32 v35, v66, v35                                // 000000009FBC: 02464742
	v_add_f32_e32 v35, v67, v35                                // 000000009FC0: 02464743
	v_add_f32_e32 v35, v68, v35                                // 000000009FC4: 02464744
	v_add_f32_e32 v35, v69, v35                                // 000000009FC8: 02464745
	v_add_f32_e32 v35, v70, v35                                // 000000009FCC: 02464746
	v_add_f32_e32 v35, v71, v35                                // 000000009FD0: 02464747
	v_add_f32_e32 v35, v72, v35                                // 000000009FD4: 02464748
	v_add_f32_e32 v35, v73, v35                                // 000000009FD8: 02464749
	v_add_f32_e32 v35, v74, v35                                // 000000009FDC: 0246474A
	v_add_f32_e32 v35, v75, v35                                // 000000009FE0: 0246474B
	v_add_f32_e32 v4, v35, v4                                  // 000000009FE4: 02080923
	v_cvt_pk_fp8_f32 v60, v60, v61                             // 000000009FE8: D2A2003C 00027B3C
	v_cvt_pk_fp8_f32 v60, v62, v63 op_sel:[0,0,1]              // 000000009FF0: D2A2403C 00027F3E
	v_cvt_pk_fp8_f32 v61, v64, v65                             // 000000009FF8: D2A2003D 00028340
	v_cvt_pk_fp8_f32 v61, v66, v67 op_sel:[0,0,1]              // 00000000A000: D2A2403D 00028742
	v_cvt_pk_fp8_f32 v62, v68, v69                             // 00000000A008: D2A2003E 00028B44
	v_cvt_pk_fp8_f32 v62, v70, v71 op_sel:[0,0,1]              // 00000000A010: D2A2403E 00028F46
	v_cvt_pk_fp8_f32 v63, v72, v73                             // 00000000A018: D2A2003F 00029348
	v_cvt_pk_fp8_f32 v63, v74, v75 op_sel:[0,0,1]              // 00000000A020: D2A2403F 0002974A
	ds_write_b128 v43, v[60:63] offset:1024                    // 00000000A028: D9BE0400 00003C2B
	s_waitcnt lgkmcnt(0)                                       // 00000000A030: BF8CC07F
	s_barrier                                                  // 00000000A034: BF8A0000
	ds_read_b128 v[60:63], v42 offset:1024                     // 00000000A038: D9FE0400 3C00002A
	ds_read_b128 v[64:67], v42 offset:2048                     // 00000000A040: D9FE0800 4000002A
	s_waitcnt lgkmcnt(0)                                       // 00000000A048: BF8CC07F
	v_permlane32_swap_b32_e32 v60, v62                         // 00000000A04C: 7E78B53E
	v_permlane32_swap_b32_e32 v61, v63                         // 00000000A050: 7E7AB53F
	v_swap_b32 v61, v62                                        // 00000000A054: 7E7AA33E
	v_permlane32_swap_b32_e32 v64, v66                         // 00000000A058: 7E80B542
	v_permlane32_swap_b32_e32 v65, v67                         // 00000000A05C: 7E82B543
	v_swap_b32 v65, v66                                        // 00000000A060: 7E82A342
	v_mov_b32_e32 v36, v21                                     // 00000000A064: 7E480315
	v_mov_b32_e32 v37, v21                                     // 00000000A068: 7E4A0315
	v_pk_mul_f32 v[76:77], v[36:37], v[76:77]                  // 00000000A06C: D3B1404C 18029924
	v_pk_mul_f32 v[78:79], v[36:37], v[78:79]                  // 00000000A074: D3B1404E 18029D24
	v_pk_mul_f32 v[80:81], v[36:37], v[80:81]                  // 00000000A07C: D3B14050 1802A124
	v_pk_mul_f32 v[82:83], v[36:37], v[82:83]                  // 00000000A084: D3B14052 1802A524
	v_pk_mul_f32 v[84:85], v[36:37], v[84:85]                  // 00000000A08C: D3B14054 1802A924
	v_pk_mul_f32 v[86:87], v[36:37], v[86:87]                  // 00000000A094: D3B14056 1802AD24
	v_pk_mul_f32 v[88:89], v[36:37], v[88:89]                  // 00000000A09C: D3B14058 1802B124
	v_pk_mul_f32 v[90:91], v[36:37], v[90:91]                  // 00000000A0A4: D3B1405A 1802B524
	v_pk_mul_f32 v[92:93], v[36:37], v[92:93]                  // 00000000A0AC: D3B1405C 1802B924
	v_pk_mul_f32 v[94:95], v[36:37], v[94:95]                  // 00000000A0B4: D3B1405E 1802BD24
	v_pk_mul_f32 v[96:97], v[36:37], v[96:97]                  // 00000000A0BC: D3B14060 1802C124
	v_pk_mul_f32 v[98:99], v[36:37], v[98:99]                  // 00000000A0C4: D3B14062 1802C524
	v_pk_mul_f32 v[100:101], v[36:37], v[100:101]              // 00000000A0CC: D3B14064 1802C924
	v_pk_mul_f32 v[102:103], v[36:37], v[102:103]              // 00000000A0D4: D3B14066 1802CD24
	v_pk_mul_f32 v[104:105], v[36:37], v[104:105]              // 00000000A0DC: D3B14068 1802D124
	v_pk_mul_f32 v[106:107], v[36:37], v[106:107]              // 00000000A0E4: D3B1406A 1802D524
	v_pk_mul_f32 v[108:109], v[36:37], v[108:109]              // 00000000A0EC: D3B1406C 1802D924
	v_pk_mul_f32 v[110:111], v[36:37], v[110:111]              // 00000000A0F4: D3B1406E 1802DD24
	v_pk_mul_f32 v[112:113], v[36:37], v[112:113]              // 00000000A0FC: D3B14070 1802E124
	v_pk_mul_f32 v[114:115], v[36:37], v[114:115]              // 00000000A104: D3B14072 1802E524
	v_pk_mul_f32 v[116:117], v[36:37], v[116:117]              // 00000000A10C: D3B14074 1802E924
	v_pk_mul_f32 v[118:119], v[36:37], v[118:119]              // 00000000A114: D3B14076 1802ED24
	v_pk_mul_f32 v[120:121], v[36:37], v[120:121]              // 00000000A11C: D3B14078 1802F124
	v_pk_mul_f32 v[122:123], v[36:37], v[122:123]              // 00000000A124: D3B1407A 1802F524
	v_pk_mul_f32 v[124:125], v[36:37], v[124:125]              // 00000000A12C: D3B1407C 1802F924
	v_pk_mul_f32 v[126:127], v[36:37], v[126:127]              // 00000000A134: D3B1407E 1802FD24
	v_pk_mul_f32 v[128:129], v[36:37], v[128:129]              // 00000000A13C: D3B14080 18030124
	v_pk_mul_f32 v[130:131], v[36:37], v[130:131]              // 00000000A144: D3B14082 18030524
	v_pk_mul_f32 v[132:133], v[36:37], v[132:133]              // 00000000A14C: D3B14084 18030924
	v_pk_mul_f32 v[134:135], v[36:37], v[134:135]              // 00000000A154: D3B14086 18030D24
	v_pk_mul_f32 v[136:137], v[36:37], v[136:137]              // 00000000A15C: D3B14088 18031124
	v_pk_mul_f32 v[138:139], v[36:37], v[138:139]              // 00000000A164: D3B1408A 18031524
	v_pk_mul_f32 v[140:141], v[36:37], v[140:141]              // 00000000A16C: D3B1408C 18031924
	v_pk_mul_f32 v[142:143], v[36:37], v[142:143]              // 00000000A174: D3B1408E 18031D24
	v_pk_mul_f32 v[144:145], v[36:37], v[144:145]              // 00000000A17C: D3B14090 18032124
	v_pk_mul_f32 v[146:147], v[36:37], v[146:147]              // 00000000A184: D3B14092 18032524
	v_pk_mul_f32 v[148:149], v[36:37], v[148:149]              // 00000000A18C: D3B14094 18032924
	v_pk_mul_f32 v[150:151], v[36:37], v[150:151]              // 00000000A194: D3B14096 18032D24
	v_pk_mul_f32 v[152:153], v[36:37], v[152:153]              // 00000000A19C: D3B14098 18033124
	v_pk_mul_f32 v[154:155], v[36:37], v[154:155]              // 00000000A1A4: D3B1409A 18033524
	v_pk_mul_f32 v[156:157], v[36:37], v[156:157]              // 00000000A1AC: D3B1409C 18033924
	v_pk_mul_f32 v[158:159], v[36:37], v[158:159]              // 00000000A1B4: D3B1409E 18033D24
	v_pk_mul_f32 v[160:161], v[36:37], v[160:161]              // 00000000A1BC: D3B140A0 18034124
	v_pk_mul_f32 v[162:163], v[36:37], v[162:163]              // 00000000A1C4: D3B140A2 18034524
	v_pk_mul_f32 v[164:165], v[36:37], v[164:165]              // 00000000A1CC: D3B140A4 18034924
	v_pk_mul_f32 v[166:167], v[36:37], v[166:167]              // 00000000A1D4: D3B140A6 18034D24
	v_pk_mul_f32 v[168:169], v[36:37], v[168:169]              // 00000000A1DC: D3B140A8 18035124
	v_pk_mul_f32 v[170:171], v[36:37], v[170:171]              // 00000000A1E4: D3B140AA 18035524
	v_pk_mul_f32 v[172:173], v[36:37], v[172:173]              // 00000000A1EC: D3B140AC 18035924
	v_pk_mul_f32 v[174:175], v[36:37], v[174:175]              // 00000000A1F4: D3B140AE 18035D24
	v_pk_mul_f32 v[176:177], v[36:37], v[176:177]              // 00000000A1FC: D3B140B0 18036124
	v_pk_mul_f32 v[178:179], v[36:37], v[178:179]              // 00000000A204: D3B140B2 18036524
	v_pk_mul_f32 v[180:181], v[36:37], v[180:181]              // 00000000A20C: D3B140B4 18036924
	v_pk_mul_f32 v[182:183], v[36:37], v[182:183]              // 00000000A214: D3B140B6 18036D24
	v_pk_mul_f32 v[184:185], v[36:37], v[184:185]              // 00000000A21C: D3B140B8 18037124
	v_pk_mul_f32 v[186:187], v[36:37], v[186:187]              // 00000000A224: D3B140BA 18037524
	v_pk_mul_f32 v[188:189], v[36:37], v[188:189]              // 00000000A22C: D3B140BC 18037924
	v_pk_mul_f32 v[190:191], v[36:37], v[190:191]              // 00000000A234: D3B140BE 18037D24
	v_pk_mul_f32 v[192:193], v[36:37], v[192:193]              // 00000000A23C: D3B140C0 18038124
	v_pk_mul_f32 v[194:195], v[36:37], v[194:195]              // 00000000A244: D3B140C2 18038524
	v_pk_mul_f32 v[196:197], v[36:37], v[196:197]              // 00000000A24C: D3B140C4 18038924
	v_pk_mul_f32 v[198:199], v[36:37], v[198:199]              // 00000000A254: D3B140C6 18038D24
	v_pk_mul_f32 v[200:201], v[36:37], v[200:201]              // 00000000A25C: D3B140C8 18039124
	v_pk_mul_f32 v[202:203], v[36:37], v[202:203]              // 00000000A264: D3B140CA 18039524
	v_mfma_f32_32x32x64_f8f6f4 v[76:91], a[72:79], v[60:67], v[76:91]// 00000000A26C: D3AE004C 0D327948
	v_mfma_f32_32x32x64_f8f6f4 v[92:107], a[80:87], v[60:67], v[92:107]// 00000000A274: D3AE005C 0D727950
	v_mfma_f32_32x32x64_f8f6f4 v[108:123], a[88:95], v[60:67], v[108:123]// 00000000A27C: D3AE006C 0DB27958
	v_mfma_f32_32x32x64_f8f6f4 v[124:139], a[96:103], v[60:67], v[124:139]// 00000000A284: D3AE007C 0DF27960
	v_mfma_f32_32x32x64_f8f6f4 v[140:155], a[104:111], v[60:67], v[140:155]// 00000000A28C: D3AE008C 0E327968
	v_mfma_f32_32x32x64_f8f6f4 v[156:171], a[112:119], v[60:67], v[156:171]// 00000000A294: D3AE009C 0E727970
	v_mfma_f32_32x32x64_f8f6f4 v[172:187], a[120:127], v[60:67], v[172:187]// 00000000A29C: D3AE00AC 0EB27978
	v_mfma_f32_32x32x64_f8f6f4 v[188:203], a[128:135], v[60:67], v[188:203]// 00000000A2A4: D3AE00BC 0EF27980
	s_nop 8                                                    // 00000000A2AC: BF800008
	s_branch label_9C4C                                        // 00000000A2B0: BF820726

000000000000a2b4 <label_7FB4>:
	s_waitcnt lgkmcnt(4)                                       // 00000000A2B4: BF8CC47F
	v_mfma_f32_32x32x64_f8f6f4 v[44:59], a[72:79], a[0:7], 0   // 00000000A2B8: D3AE002C 1A020148
	v_mfma_f32_32x32x64_f8f6f4 v[44:59], a[80:87], a[8:15], v[44:59]// 00000000A2C0: D3AE002C 1CB21150
	v_mfma_f32_32x32x64_f8f6f4 v[44:59], a[88:95], a[16:23], v[44:59]// 00000000A2C8: D3AE002C 1CB22158
	ds_read_b64_tr_b8 a[72:73], v17                            // 00000000A2D0: DBC40000 48000011
	ds_read_b64_tr_b8 a[74:75], v18                            // 00000000A2D8: DBC40000 4A000012
	ds_read_b64_tr_b8 a[76:77], v17 offset:18432               // 00000000A2E0: DBC44800 4C000011
	ds_read_b64_tr_b8 a[78:79], v18 offset:18432               // 00000000A2E8: DBC44800 4E000012
	v_mfma_f32_32x32x64_f8f6f4 v[44:59], a[96:103], a[24:31], v[44:59]// 00000000A2F0: D3AE002C 1CB23160
	ds_read_b64_tr_b8 a[80:81], v19                            // 00000000A2F8: DBC40000 50000013
	ds_read_b64_tr_b8 a[82:83], v20                            // 00000000A300: DBC40000 52000014
	ds_read_b64_tr_b8 a[84:85], v19 offset:18432               // 00000000A308: DBC44800 54000013
	ds_read_b64_tr_b8 a[86:87], v20 offset:18432               // 00000000A310: DBC44800 56000014
	v_mfma_f32_32x32x64_f8f6f4 v[44:59], a[104:111], a[32:39], v[44:59]// 00000000A318: D3AE002C 1CB24168
	ds_read_b64_tr_b8 a[88:89], v17 offset:1024                // 00000000A320: DBC40400 58000011
	ds_read_b64_tr_b8 a[90:91], v18 offset:1024                // 00000000A328: DBC40400 5A000012
	ds_read_b64_tr_b8 a[92:93], v17 offset:19456               // 00000000A330: DBC44C00 5C000011
	ds_read_b64_tr_b8 a[94:95], v18 offset:19456               // 00000000A338: DBC44C00 5E000012
	v_mfma_f32_32x32x64_f8f6f4 v[44:59], a[112:119], a[40:47], v[44:59]// 00000000A340: D3AE002C 1CB25170
	ds_read_b64_tr_b8 a[96:97], v19 offset:1024                // 00000000A348: DBC40400 60000013
	ds_read_b64_tr_b8 a[98:99], v20 offset:1024                // 00000000A350: DBC40400 62000014
	ds_read_b64_tr_b8 a[100:101], v19 offset:19456             // 00000000A358: DBC44C00 64000013
	ds_read_b64_tr_b8 a[102:103], v20 offset:19456             // 00000000A360: DBC44C00 66000014
	v_mfma_f32_32x32x64_f8f6f4 v[44:59], a[120:127], a[48:55], v[44:59]// 00000000A368: D3AE002C 1CB26178
	ds_read_b64_tr_b8 a[104:105], v17 offset:2048              // 00000000A370: DBC40800 68000011
	ds_read_b64_tr_b8 a[106:107], v18 offset:2048              // 00000000A378: DBC40800 6A000012
	ds_read_b64_tr_b8 a[108:109], v17 offset:20480             // 00000000A380: DBC45000 6C000011
	ds_read_b64_tr_b8 a[110:111], v18 offset:20480             // 00000000A388: DBC45000 6E000012
	v_mfma_f32_32x32x64_f8f6f4 v[44:59], a[128:135], a[56:63], v[44:59]// 00000000A390: D3AE002C 1CB27180
	ds_read_b64_tr_b8 a[112:113], v19 offset:2048              // 00000000A398: DBC40800 70000013
	ds_read_b64_tr_b8 a[114:115], v20 offset:2048              // 00000000A3A0: DBC40800 72000014
	ds_read_b64_tr_b8 a[116:117], v19 offset:20480             // 00000000A3A8: DBC45000 74000013
	ds_read_b64_tr_b8 a[118:119], v20 offset:20480             // 00000000A3B0: DBC45000 76000014
	v_mfma_f32_32x32x64_f8f6f4 v[44:59], a[136:143], a[64:71], v[44:59]// 00000000A3B8: D3AE002C 1CB28188
	ds_read_b64_tr_b8 a[120:121], v17 offset:3072              // 00000000A3C0: DBC40C00 78000011
	ds_read_b64_tr_b8 a[122:123], v18 offset:3072              // 00000000A3C8: DBC40C00 7A000012
	ds_read_b64_tr_b8 a[124:125], v17 offset:21504             // 00000000A3D0: DBC45400 7C000011
	ds_read_b64_tr_b8 a[126:127], v18 offset:21504             // 00000000A3D8: DBC45400 7E000012
	ds_read_b64_tr_b8 a[128:129], v19 offset:3072              // 00000000A3E0: DBC40C00 80000013
	ds_read_b64_tr_b8 a[130:131], v20 offset:3072              // 00000000A3E8: DBC40C00 82000014
	ds_read_b64_tr_b8 a[132:133], v19 offset:21504             // 00000000A3F0: DBC45400 84000013
	ds_read_b64_tr_b8 a[134:135], v20 offset:21504             // 00000000A3F8: DBC45400 86000014
	s_cmp_le_i32 s83, s82                                      // 00000000A400: BF055253
	s_cbranch_scc1 label_82EC                                  // 00000000A404: BF850079
	s_mov_b32 s36, 0xffff0000                                  // 00000000A408: BEA400FF FFFF0000
	s_mov_b32 s37, 0xffff0000                                  // 00000000A410: BEA500FF FFFF0000
	v_mov_b32_e32 v36, s82                                     // 00000000A418: 7E480252
	s_add_i32 s56, s82, 1                                      // 00000000A41C: 81388152
	v_mov_b32_e32 v37, s56                                     // 00000000A420: 7E4A0238
	v_cndmask_b32_e64 v35, v36, v37, s[36:37]                  // 00000000A424: D1000023 00924B24
	s_and_b32 s56, 2, s7                                       // 00000000A42C: 86380782
	v_add_i32 v35, s56, v35                                    // 00000000A430: D29C0023 00024638
	s_sub_u32 s56, s83, 64                                     // 00000000A438: 80B8C053
	v_lshrrev_b32_e32 v204, 5, v0                              // 00000000A43C: 21980085
	v_mul_i32_i24_e32 v204, 4, v204                            // 00000000A440: 0D999884
	v_add_u32_e32 v204, s56, v204                              // 00000000A444: 69999838
	s_and_b32 s56, s7, 1                                       // 00000000A448: 86388107
	s_mov_b32 s57, 32                                          // 00000000A44C: BEB900A0
	s_mul_i32 s56, s57, s56                                    // 00000000A450: 92383839
	v_add_u32_e32 v204, s56, v204                              // 00000000A454: 69999838
	v_add_u32_e32 v205, 1, v204                                // 00000000A458: 699B9881
	v_add_u32_e32 v206, 2, v204                                // 00000000A45C: 699D9882
	v_add_u32_e32 v207, 3, v204                                // 00000000A460: 699F9883
	v_mov_b32_e32 v37, 0xff800000                              // 00000000A464: 7E4A02FF FF800000
	v_cmp_le_i32_e64 s[36:37], v204, v35                       // 00000000A46C: D0C30024 000247CC
	s_nop 0                                                    // 00000000A474: BF800000
	v_cndmask_b32_e64 v44, v37, v44, s[36:37]                  // 00000000A478: D100002C 00925925
	v_add_u32_e32 v204, 8, v204                                // 00000000A480: 69999888
	v_cmp_le_i32_e64 s[36:37], v205, v35                       // 00000000A484: D0C30024 000247CD
	s_nop 0                                                    // 00000000A48C: BF800000
	v_cndmask_b32_e64 v45, v37, v45, s[36:37]                  // 00000000A490: D100002D 00925B25
	v_add_u32_e32 v205, 8, v205                                // 00000000A498: 699B9A88
	v_cmp_le_i32_e64 s[36:37], v206, v35                       // 00000000A49C: D0C30024 000247CE
	s_nop 0                                                    // 00000000A4A4: BF800000
	v_cndmask_b32_e64 v46, v37, v46, s[36:37]                  // 00000000A4A8: D100002E 00925D25
	v_add_u32_e32 v206, 8, v206                                // 00000000A4B0: 699D9C88
	v_cmp_le_i32_e64 s[36:37], v207, v35                       // 00000000A4B4: D0C30024 000247CF
	s_nop 0                                                    // 00000000A4BC: BF800000
	v_cndmask_b32_e64 v47, v37, v47, s[36:37]                  // 00000000A4C0: D100002F 00925F25
	v_add_u32_e32 v207, 8, v207                                // 00000000A4C8: 699F9E88
	v_cmp_le_i32_e64 s[36:37], v204, v35                       // 00000000A4CC: D0C30024 000247CC
	s_nop 0                                                    // 00000000A4D4: BF800000
	v_cndmask_b32_e64 v48, v37, v48, s[36:37]                  // 00000000A4D8: D1000030 00926125
	v_add_u32_e32 v204, 8, v204                                // 00000000A4E0: 69999888
	v_cmp_le_i32_e64 s[36:37], v205, v35                       // 00000000A4E4: D0C30024 000247CD
	s_nop 0                                                    // 00000000A4EC: BF800000
	v_cndmask_b32_e64 v49, v37, v49, s[36:37]                  // 00000000A4F0: D1000031 00926325
	v_add_u32_e32 v205, 8, v205                                // 00000000A4F8: 699B9A88
	v_cmp_le_i32_e64 s[36:37], v206, v35                       // 00000000A4FC: D0C30024 000247CE
	s_nop 0                                                    // 00000000A504: BF800000
	v_cndmask_b32_e64 v50, v37, v50, s[36:37]                  // 00000000A508: D1000032 00926525
	v_add_u32_e32 v206, 8, v206                                // 00000000A510: 699D9C88
	v_cmp_le_i32_e64 s[36:37], v207, v35                       // 00000000A514: D0C30024 000247CF
	s_nop 0                                                    // 00000000A51C: BF800000
	v_cndmask_b32_e64 v51, v37, v51, s[36:37]                  // 00000000A520: D1000033 00926725
	v_add_u32_e32 v207, 8, v207                                // 00000000A528: 699F9E88
	v_cmp_le_i32_e64 s[36:37], v204, v35                       // 00000000A52C: D0C30024 000247CC
	s_nop 0                                                    // 00000000A534: BF800000
	v_cndmask_b32_e64 v52, v37, v52, s[36:37]                  // 00000000A538: D1000034 00926925
	v_add_u32_e32 v204, 8, v204                                // 00000000A540: 69999888
	v_cmp_le_i32_e64 s[36:37], v205, v35                       // 00000000A544: D0C30024 000247CD
	s_nop 0                                                    // 00000000A54C: BF800000
	v_cndmask_b32_e64 v53, v37, v53, s[36:37]                  // 00000000A550: D1000035 00926B25
	v_add_u32_e32 v205, 8, v205                                // 00000000A558: 699B9A88
	v_cmp_le_i32_e64 s[36:37], v206, v35                       // 00000000A55C: D0C30024 000247CE
	s_nop 0                                                    // 00000000A564: BF800000
	v_cndmask_b32_e64 v54, v37, v54, s[36:37]                  // 00000000A568: D1000036 00926D25
	v_add_u32_e32 v206, 8, v206                                // 00000000A570: 699D9C88
	v_cmp_le_i32_e64 s[36:37], v207, v35                       // 00000000A574: D0C30024 000247CF
	s_nop 0                                                    // 00000000A57C: BF800000
	v_cndmask_b32_e64 v55, v37, v55, s[36:37]                  // 00000000A580: D1000037 00926F25
	v_add_u32_e32 v207, 8, v207                                // 00000000A588: 699F9E88
	v_cmp_le_i32_e64 s[36:37], v204, v35                       // 00000000A58C: D0C30024 000247CC
	s_nop 0                                                    // 00000000A594: BF800000
	v_cndmask_b32_e64 v56, v37, v56, s[36:37]                  // 00000000A598: D1000038 00927125
	v_add_u32_e32 v204, 8, v204                                // 00000000A5A0: 69999888
	v_cmp_le_i32_e64 s[36:37], v205, v35                       // 00000000A5A4: D0C30024 000247CD
	s_nop 0                                                    // 00000000A5AC: BF800000
	v_cndmask_b32_e64 v57, v37, v57, s[36:37]                  // 00000000A5B0: D1000039 00927325
	v_add_u32_e32 v205, 8, v205                                // 00000000A5B8: 699B9A88
	v_cmp_le_i32_e64 s[36:37], v206, v35                       // 00000000A5BC: D0C30024 000247CE
	s_nop 0                                                    // 00000000A5C4: BF800000
	v_cndmask_b32_e64 v58, v37, v58, s[36:37]                  // 00000000A5C8: D100003A 00927525
	v_add_u32_e32 v206, 8, v206                                // 00000000A5D0: 699D9C88
	v_cmp_le_i32_e64 s[36:37], v207, v35                       // 00000000A5D4: D0C30024 000247CF
	s_nop 0                                                    // 00000000A5DC: BF800000
	v_cndmask_b32_e64 v59, v37, v59, s[36:37]                  // 00000000A5E0: D100003B 00927725
	v_add_u32_e32 v207, 8, v207                                // 00000000A5E8: 699F9E88

000000000000a5ec <label_82EC>:
	s_and_b32 s56, s48, 0xff                                   // 00000000A5EC: 8638FF30 000000FF
	v_mov_b32_e32 v36, s56                                     // 00000000A5F4: 7E480238
	v_lshrrev_b32_e32 v204, 5, v0                              // 00000000A5F8: 21980085
	v_mul_i32_i24_e32 v204, 4, v204                            // 00000000A5FC: 0D999884
	s_and_b32 s56, s7, 1                                       // 00000000A600: 86388107
	s_mov_b32 s57, 32                                          // 00000000A604: BEB900A0
	s_mul_i32 s56, s57, s56                                    // 00000000A608: 92383839
	v_add_u32_e32 v204, s56, v204                              // 00000000A60C: 69999838
	v_add_u32_e32 v205, 1, v204                                // 00000000A610: 699B9881
	v_add_u32_e32 v206, 2, v204                                // 00000000A614: 699D9882
	v_add_u32_e32 v207, 3, v204                                // 00000000A618: 699F9883
	v_mov_b32_e32 v35, 0xff800000                              // 00000000A61C: 7E4602FF FF800000
	v_cmp_lt_u32_e64 s[36:37], v204, v36                       // 00000000A624: D0C90024 000249CC
	v_add_u32_e32 v204, 8, v204                                // 00000000A62C: 69999888
	s_nop 0                                                    // 00000000A630: BF800000
	v_cndmask_b32_e64 v44, v35, v44, s[36:37]                  // 00000000A634: D100002C 00925923
	v_cmp_lt_u32_e64 s[36:37], v205, v36                       // 00000000A63C: D0C90024 000249CD
	v_add_u32_e32 v205, 8, v205                                // 00000000A644: 699B9A88
	s_nop 0                                                    // 00000000A648: BF800000
	v_cndmask_b32_e64 v45, v35, v45, s[36:37]                  // 00000000A64C: D100002D 00925B23
	v_cmp_lt_u32_e64 s[36:37], v206, v36                       // 00000000A654: D0C90024 000249CE
	v_add_u32_e32 v206, 8, v206                                // 00000000A65C: 699D9C88
	s_nop 0                                                    // 00000000A660: BF800000
	v_cndmask_b32_e64 v46, v35, v46, s[36:37]                  // 00000000A664: D100002E 00925D23
	v_cmp_lt_u32_e64 s[36:37], v207, v36                       // 00000000A66C: D0C90024 000249CF
	v_add_u32_e32 v207, 8, v207                                // 00000000A674: 699F9E88
	s_nop 0                                                    // 00000000A678: BF800000
	v_cndmask_b32_e64 v47, v35, v47, s[36:37]                  // 00000000A67C: D100002F 00925F23
	v_cmp_lt_u32_e64 s[36:37], v204, v36                       // 00000000A684: D0C90024 000249CC
	v_add_u32_e32 v204, 8, v204                                // 00000000A68C: 69999888
	s_nop 0                                                    // 00000000A690: BF800000
	v_cndmask_b32_e64 v48, v35, v48, s[36:37]                  // 00000000A694: D1000030 00926123
	v_cmp_lt_u32_e64 s[36:37], v205, v36                       // 00000000A69C: D0C90024 000249CD
	v_add_u32_e32 v205, 8, v205                                // 00000000A6A4: 699B9A88
	s_nop 0                                                    // 00000000A6A8: BF800000
	v_cndmask_b32_e64 v49, v35, v49, s[36:37]                  // 00000000A6AC: D1000031 00926323
	v_cmp_lt_u32_e64 s[36:37], v206, v36                       // 00000000A6B4: D0C90024 000249CE
	v_add_u32_e32 v206, 8, v206                                // 00000000A6BC: 699D9C88
	s_nop 0                                                    // 00000000A6C0: BF800000
	v_cndmask_b32_e64 v50, v35, v50, s[36:37]                  // 00000000A6C4: D1000032 00926523
	v_cmp_lt_u32_e64 s[36:37], v207, v36                       // 00000000A6CC: D0C90024 000249CF
	v_add_u32_e32 v207, 8, v207                                // 00000000A6D4: 699F9E88
	s_nop 0                                                    // 00000000A6D8: BF800000
	v_cndmask_b32_e64 v51, v35, v51, s[36:37]                  // 00000000A6DC: D1000033 00926723
	v_cmp_lt_u32_e64 s[36:37], v204, v36                       // 00000000A6E4: D0C90024 000249CC
	v_add_u32_e32 v204, 8, v204                                // 00000000A6EC: 69999888
	s_nop 0                                                    // 00000000A6F0: BF800000
	v_cndmask_b32_e64 v52, v35, v52, s[36:37]                  // 00000000A6F4: D1000034 00926923
	v_cmp_lt_u32_e64 s[36:37], v205, v36                       // 00000000A6FC: D0C90024 000249CD
	v_add_u32_e32 v205, 8, v205                                // 00000000A704: 699B9A88
	s_nop 0                                                    // 00000000A708: BF800000
	v_cndmask_b32_e64 v53, v35, v53, s[36:37]                  // 00000000A70C: D1000035 00926B23
	v_cmp_lt_u32_e64 s[36:37], v206, v36                       // 00000000A714: D0C90024 000249CE
	v_add_u32_e32 v206, 8, v206                                // 00000000A71C: 699D9C88
	s_nop 0                                                    // 00000000A720: BF800000
	v_cndmask_b32_e64 v54, v35, v54, s[36:37]                  // 00000000A724: D1000036 00926D23
	v_cmp_lt_u32_e64 s[36:37], v207, v36                       // 00000000A72C: D0C90024 000249CF
	v_add_u32_e32 v207, 8, v207                                // 00000000A734: 699F9E88
	s_nop 0                                                    // 00000000A738: BF800000
	v_cndmask_b32_e64 v55, v35, v55, s[36:37]                  // 00000000A73C: D1000037 00926F23
	v_cmp_lt_u32_e64 s[36:37], v204, v36                       // 00000000A744: D0C90024 000249CC
	v_add_u32_e32 v204, 8, v204                                // 00000000A74C: 69999888
	s_nop 0                                                    // 00000000A750: BF800000
	v_cndmask_b32_e64 v56, v35, v56, s[36:37]                  // 00000000A754: D1000038 00927123
	v_cmp_lt_u32_e64 s[36:37], v205, v36                       // 00000000A75C: D0C90024 000249CD
	v_add_u32_e32 v205, 8, v205                                // 00000000A764: 699B9A88
	s_nop 0                                                    // 00000000A768: BF800000
	v_cndmask_b32_e64 v57, v35, v57, s[36:37]                  // 00000000A76C: D1000039 00927323
	v_cmp_lt_u32_e64 s[36:37], v206, v36                       // 00000000A774: D0C90024 000249CE
	v_add_u32_e32 v206, 8, v206                                // 00000000A77C: 699D9C88
	s_nop 0                                                    // 00000000A780: BF800000
	v_cndmask_b32_e64 v58, v35, v58, s[36:37]                  // 00000000A784: D100003A 00927523
	v_cmp_lt_u32_e64 s[36:37], v207, v36                       // 00000000A78C: D0C90024 000249CF
	v_add_u32_e32 v207, 8, v207                                // 00000000A794: 699F9E88
	s_nop 0                                                    // 00000000A798: BF800000
	v_cndmask_b32_e64 v59, v35, v59, s[36:37]                  // 00000000A79C: D100003B 00927723
	s_nop 2                                                    // 00000000A7A4: BF800002
	v_mov_b32_e32 v213, v44                                    // 00000000A7A8: 7FAA032C
	v_max3_f32 v213, v44, v45, v213                            // 00000000A7AC: D1D300D5 07565B2C
	v_max3_f32 v213, v46, v47, v213                            // 00000000A7B4: D1D300D5 07565F2E
	v_max3_f32 v213, v48, v49, v213                            // 00000000A7BC: D1D300D5 07566330
	v_max3_f32 v213, v50, v51, v213                            // 00000000A7C4: D1D300D5 07566732
	v_max3_f32 v213, v52, v53, v213                            // 00000000A7CC: D1D300D5 07566B34
	v_max3_f32 v213, v54, v55, v213                            // 00000000A7D4: D1D300D5 07566F36
	v_max3_f32 v213, v56, v57, v213                            // 00000000A7DC: D1D300D5 07567338
	v_max3_f32 v213, v58, v59, v213                            // 00000000A7E4: D1D300D5 0756773A
	v_mov_b32_e32 v35, v213                                    // 00000000A7EC: 7E4603D5
	v_mov_b32_e32 v36, v213                                    // 00000000A7F0: 7E4803D5
	s_nop 1                                                    // 00000000A7F4: BF800001
	v_permlane32_swap_b32_e32 v35, v36                         // 00000000A7F8: 7E46B524
	v_max3_f32 v213, v35, v36, v213                            // 00000000A7FC: D1D300D5 07564923
	ds_write_b32 v41, v213                                     // 00000000A804: D81A0000 0000D529
	s_waitcnt lgkmcnt(0)                                       // 00000000A80C: BF8CC07F
	s_barrier                                                  // 00000000A810: BF8A0000
	ds_read_b32 v35, v40                                       // 00000000A814: D86C0000 23000028
	ds_read_b32 v36, v40 offset:256                            // 00000000A81C: D86C0100 24000028
	s_waitcnt lgkmcnt(0)                                       // 00000000A824: BF8CC07F
	v_max3_f32 v213, v35, v36, v213                            // 00000000A828: D1D300D5 07564923
	v_mov_b32_e32 v35, 0xff800000                              // 00000000A830: 7E4602FF FF800000
	v_cmp_eq_u32_e64 s[36:37], v35, v2                         // 00000000A838: D0CA0024 00020523
	v_max_f32_e32 v216, v213, v2                               // 00000000A840: 17B005D5
	v_sub_f32_e32 v21, v2, v216                                // 00000000A844: 042BB102
	v_cndmask_b32_e64 v21, v21, 0, s[36:37]                    // 00000000A848: D1000015 00910115
	v_mov_b32_e32 v2, v216                                     // 00000000A850: 7E0403D8
	v_mul_f32_e32 v212, s5, v216                               // 00000000A854: 0BA9B005
	v_mul_f32_e32 v21, s5, v21                                 // 00000000A858: 0A2A2A05
	v_exp_f32_e32 v21, v21                                     // 00000000A85C: 7E2A4115
	v_fma_f32 v44, v44, s5, -v212                              // 00000000A860: D1CB002C 87500B2C
	v_fma_f32 v45, v45, s5, -v212                              // 00000000A868: D1CB002D 87500B2D
	v_fma_f32 v46, v46, s5, -v212                              // 00000000A870: D1CB002E 87500B2E
	v_fma_f32 v47, v47, s5, -v212                              // 00000000A878: D1CB002F 87500B2F
	v_fma_f32 v48, v48, s5, -v212                              // 00000000A880: D1CB0030 87500B30
	v_fma_f32 v49, v49, s5, -v212                              // 00000000A888: D1CB0031 87500B31
	v_fma_f32 v50, v50, s5, -v212                              // 00000000A890: D1CB0032 87500B32
	v_fma_f32 v51, v51, s5, -v212                              // 00000000A898: D1CB0033 87500B33
	v_fma_f32 v52, v52, s5, -v212                              // 00000000A8A0: D1CB0034 87500B34
	v_fma_f32 v53, v53, s5, -v212                              // 00000000A8A8: D1CB0035 87500B35
	v_fma_f32 v54, v54, s5, -v212                              // 00000000A8B0: D1CB0036 87500B36
	v_fma_f32 v55, v55, s5, -v212                              // 00000000A8B8: D1CB0037 87500B37
	v_fma_f32 v56, v56, s5, -v212                              // 00000000A8C0: D1CB0038 87500B38
	v_fma_f32 v57, v57, s5, -v212                              // 00000000A8C8: D1CB0039 87500B39
	v_fma_f32 v58, v58, s5, -v212                              // 00000000A8D0: D1CB003A 87500B3A
	v_fma_f32 v59, v59, s5, -v212                              // 00000000A8D8: D1CB003B 87500B3B
	v_mov_b32_e32 v35, 0xffc00000                              // 00000000A8E0: 7E4602FF FFC00000
	v_exp_f32_e32 v44, v44                                     // 00000000A8E8: 7E58412C
	v_exp_f32_e32 v45, v45                                     // 00000000A8EC: 7E5A412D
	v_exp_f32_e32 v46, v46                                     // 00000000A8F0: 7E5C412E
	v_exp_f32_e32 v47, v47                                     // 00000000A8F4: 7E5E412F
	v_exp_f32_e32 v48, v48                                     // 00000000A8F8: 7E604130
	v_exp_f32_e32 v49, v49                                     // 00000000A8FC: 7E624131
	v_exp_f32_e32 v50, v50                                     // 00000000A900: 7E644132
	v_exp_f32_e32 v51, v51                                     // 00000000A904: 7E664133
	v_exp_f32_e32 v52, v52                                     // 00000000A908: 7E684134
	v_exp_f32_e32 v53, v53                                     // 00000000A90C: 7E6A4135
	v_exp_f32_e32 v54, v54                                     // 00000000A910: 7E6C4136
	v_exp_f32_e32 v55, v55                                     // 00000000A914: 7E6E4137
	v_exp_f32_e32 v56, v56                                     // 00000000A918: 7E704138
	v_exp_f32_e32 v57, v57                                     // 00000000A91C: 7E724139
	v_exp_f32_e32 v58, v58                                     // 00000000A920: 7E74413A
	v_exp_f32_e32 v59, v59                                     // 00000000A924: 7E76413B
	v_mul_f32_e32 v4, v21, v4                                  // 00000000A928: 0A080915
	v_mov_b32_e32 v35, v44                                     // 00000000A92C: 7E46032C
	v_add_f32_e32 v35, v45, v35                                // 00000000A930: 0246472D
	v_add_f32_e32 v35, v46, v35                                // 00000000A934: 0246472E
	v_add_f32_e32 v35, v47, v35                                // 00000000A938: 0246472F
	v_add_f32_e32 v35, v48, v35                                // 00000000A93C: 02464730
	v_add_f32_e32 v35, v49, v35                                // 00000000A940: 02464731
	v_add_f32_e32 v35, v50, v35                                // 00000000A944: 02464732
	v_add_f32_e32 v35, v51, v35                                // 00000000A948: 02464733
	v_add_f32_e32 v35, v52, v35                                // 00000000A94C: 02464734
	v_add_f32_e32 v35, v53, v35                                // 00000000A950: 02464735
	v_add_f32_e32 v35, v54, v35                                // 00000000A954: 02464736
	v_add_f32_e32 v35, v55, v35                                // 00000000A958: 02464737
	v_add_f32_e32 v35, v56, v35                                // 00000000A95C: 02464738
	v_add_f32_e32 v35, v57, v35                                // 00000000A960: 02464739
	v_add_f32_e32 v35, v58, v35                                // 00000000A964: 0246473A
	v_add_f32_e32 v35, v59, v35                                // 00000000A968: 0246473B
	v_add_f32_e32 v4, v35, v4                                  // 00000000A96C: 02080923
	v_cvt_pk_fp8_f32 v44, v44, v45                             // 00000000A970: D2A2002C 00025B2C
	v_cvt_pk_fp8_f32 v44, v46, v47 op_sel:[0,0,1]              // 00000000A978: D2A2402C 00025F2E
	v_cvt_pk_fp8_f32 v45, v48, v49                             // 00000000A980: D2A2002D 00026330
	v_cvt_pk_fp8_f32 v45, v50, v51 op_sel:[0,0,1]              // 00000000A988: D2A2402D 00026732
	v_cvt_pk_fp8_f32 v46, v52, v53                             // 00000000A990: D2A2002E 00026B34
	v_cvt_pk_fp8_f32 v46, v54, v55 op_sel:[0,0,1]              // 00000000A998: D2A2402E 00026F36
	v_cvt_pk_fp8_f32 v47, v56, v57                             // 00000000A9A0: D2A2002F 00027338
	v_cvt_pk_fp8_f32 v47, v58, v59 op_sel:[0,0,1]              // 00000000A9A8: D2A2402F 0002773A
	ds_write_b128 v43, v[44:47] offset:1024                    // 00000000A9B0: D9BE0400 00002C2B
	s_waitcnt lgkmcnt(0)                                       // 00000000A9B8: BF8CC07F
	s_barrier                                                  // 00000000A9BC: BF8A0000
	ds_read_b128 v[44:47], v42 offset:1024                     // 00000000A9C0: D9FE0400 2C00002A
	ds_read_b128 v[48:51], v42 offset:2048                     // 00000000A9C8: D9FE0800 3000002A
	s_waitcnt lgkmcnt(0)                                       // 00000000A9D0: BF8CC07F
	v_permlane32_swap_b32_e32 v44, v46                         // 00000000A9D4: 7E58B52E
	v_permlane32_swap_b32_e32 v45, v47                         // 00000000A9D8: 7E5AB52F
	v_swap_b32 v45, v46                                        // 00000000A9DC: 7E5AA32E
	v_permlane32_swap_b32_e32 v48, v50                         // 00000000A9E0: 7E60B532
	v_permlane32_swap_b32_e32 v49, v51                         // 00000000A9E4: 7E62B533
	v_swap_b32 v49, v50                                        // 00000000A9E8: 7E62A332
	v_mov_b32_e32 v36, v21                                     // 00000000A9EC: 7E480315
	v_mov_b32_e32 v37, v21                                     // 00000000A9F0: 7E4A0315
	v_pk_mul_f32 v[76:77], v[36:37], v[76:77]                  // 00000000A9F4: D3B1404C 18029924
	v_pk_mul_f32 v[78:79], v[36:37], v[78:79]                  // 00000000A9FC: D3B1404E 18029D24
	v_pk_mul_f32 v[80:81], v[36:37], v[80:81]                  // 00000000AA04: D3B14050 1802A124
	v_pk_mul_f32 v[82:83], v[36:37], v[82:83]                  // 00000000AA0C: D3B14052 1802A524
	v_pk_mul_f32 v[84:85], v[36:37], v[84:85]                  // 00000000AA14: D3B14054 1802A924
	v_pk_mul_f32 v[86:87], v[36:37], v[86:87]                  // 00000000AA1C: D3B14056 1802AD24
	v_pk_mul_f32 v[88:89], v[36:37], v[88:89]                  // 00000000AA24: D3B14058 1802B124
	v_pk_mul_f32 v[90:91], v[36:37], v[90:91]                  // 00000000AA2C: D3B1405A 1802B524
	v_pk_mul_f32 v[92:93], v[36:37], v[92:93]                  // 00000000AA34: D3B1405C 1802B924
	v_pk_mul_f32 v[94:95], v[36:37], v[94:95]                  // 00000000AA3C: D3B1405E 1802BD24
	v_pk_mul_f32 v[96:97], v[36:37], v[96:97]                  // 00000000AA44: D3B14060 1802C124
	v_pk_mul_f32 v[98:99], v[36:37], v[98:99]                  // 00000000AA4C: D3B14062 1802C524
	v_pk_mul_f32 v[100:101], v[36:37], v[100:101]              // 00000000AA54: D3B14064 1802C924
	v_pk_mul_f32 v[102:103], v[36:37], v[102:103]              // 00000000AA5C: D3B14066 1802CD24
	v_pk_mul_f32 v[104:105], v[36:37], v[104:105]              // 00000000AA64: D3B14068 1802D124
	v_pk_mul_f32 v[106:107], v[36:37], v[106:107]              // 00000000AA6C: D3B1406A 1802D524
	v_pk_mul_f32 v[108:109], v[36:37], v[108:109]              // 00000000AA74: D3B1406C 1802D924
	v_pk_mul_f32 v[110:111], v[36:37], v[110:111]              // 00000000AA7C: D3B1406E 1802DD24
	v_pk_mul_f32 v[112:113], v[36:37], v[112:113]              // 00000000AA84: D3B14070 1802E124
	v_pk_mul_f32 v[114:115], v[36:37], v[114:115]              // 00000000AA8C: D3B14072 1802E524
	v_pk_mul_f32 v[116:117], v[36:37], v[116:117]              // 00000000AA94: D3B14074 1802E924
	v_pk_mul_f32 v[118:119], v[36:37], v[118:119]              // 00000000AA9C: D3B14076 1802ED24
	v_pk_mul_f32 v[120:121], v[36:37], v[120:121]              // 00000000AAA4: D3B14078 1802F124
	v_pk_mul_f32 v[122:123], v[36:37], v[122:123]              // 00000000AAAC: D3B1407A 1802F524
	v_pk_mul_f32 v[124:125], v[36:37], v[124:125]              // 00000000AAB4: D3B1407C 1802F924
	v_pk_mul_f32 v[126:127], v[36:37], v[126:127]              // 00000000AABC: D3B1407E 1802FD24
	v_pk_mul_f32 v[128:129], v[36:37], v[128:129]              // 00000000AAC4: D3B14080 18030124
	v_pk_mul_f32 v[130:131], v[36:37], v[130:131]              // 00000000AACC: D3B14082 18030524
	v_pk_mul_f32 v[132:133], v[36:37], v[132:133]              // 00000000AAD4: D3B14084 18030924
	v_pk_mul_f32 v[134:135], v[36:37], v[134:135]              // 00000000AADC: D3B14086 18030D24
	v_pk_mul_f32 v[136:137], v[36:37], v[136:137]              // 00000000AAE4: D3B14088 18031124
	v_pk_mul_f32 v[138:139], v[36:37], v[138:139]              // 00000000AAEC: D3B1408A 18031524
	v_pk_mul_f32 v[140:141], v[36:37], v[140:141]              // 00000000AAF4: D3B1408C 18031924
	v_pk_mul_f32 v[142:143], v[36:37], v[142:143]              // 00000000AAFC: D3B1408E 18031D24
	v_pk_mul_f32 v[144:145], v[36:37], v[144:145]              // 00000000AB04: D3B14090 18032124
	v_pk_mul_f32 v[146:147], v[36:37], v[146:147]              // 00000000AB0C: D3B14092 18032524
	v_pk_mul_f32 v[148:149], v[36:37], v[148:149]              // 00000000AB14: D3B14094 18032924
	v_pk_mul_f32 v[150:151], v[36:37], v[150:151]              // 00000000AB1C: D3B14096 18032D24
	v_pk_mul_f32 v[152:153], v[36:37], v[152:153]              // 00000000AB24: D3B14098 18033124
	v_pk_mul_f32 v[154:155], v[36:37], v[154:155]              // 00000000AB2C: D3B1409A 18033524
	v_pk_mul_f32 v[156:157], v[36:37], v[156:157]              // 00000000AB34: D3B1409C 18033924
	v_pk_mul_f32 v[158:159], v[36:37], v[158:159]              // 00000000AB3C: D3B1409E 18033D24
	v_pk_mul_f32 v[160:161], v[36:37], v[160:161]              // 00000000AB44: D3B140A0 18034124
	v_pk_mul_f32 v[162:163], v[36:37], v[162:163]              // 00000000AB4C: D3B140A2 18034524
	v_pk_mul_f32 v[164:165], v[36:37], v[164:165]              // 00000000AB54: D3B140A4 18034924
	v_pk_mul_f32 v[166:167], v[36:37], v[166:167]              // 00000000AB5C: D3B140A6 18034D24
	v_pk_mul_f32 v[168:169], v[36:37], v[168:169]              // 00000000AB64: D3B140A8 18035124
	v_pk_mul_f32 v[170:171], v[36:37], v[170:171]              // 00000000AB6C: D3B140AA 18035524
	v_pk_mul_f32 v[172:173], v[36:37], v[172:173]              // 00000000AB74: D3B140AC 18035924
	v_pk_mul_f32 v[174:175], v[36:37], v[174:175]              // 00000000AB7C: D3B140AE 18035D24
	v_pk_mul_f32 v[176:177], v[36:37], v[176:177]              // 00000000AB84: D3B140B0 18036124
	v_pk_mul_f32 v[178:179], v[36:37], v[178:179]              // 00000000AB8C: D3B140B2 18036524
	v_pk_mul_f32 v[180:181], v[36:37], v[180:181]              // 00000000AB94: D3B140B4 18036924
	v_pk_mul_f32 v[182:183], v[36:37], v[182:183]              // 00000000AB9C: D3B140B6 18036D24
	v_pk_mul_f32 v[184:185], v[36:37], v[184:185]              // 00000000ABA4: D3B140B8 18037124
	v_pk_mul_f32 v[186:187], v[36:37], v[186:187]              // 00000000ABAC: D3B140BA 18037524
	v_pk_mul_f32 v[188:189], v[36:37], v[188:189]              // 00000000ABB4: D3B140BC 18037924
	v_pk_mul_f32 v[190:191], v[36:37], v[190:191]              // 00000000ABBC: D3B140BE 18037D24
	v_pk_mul_f32 v[192:193], v[36:37], v[192:193]              // 00000000ABC4: D3B140C0 18038124
	v_pk_mul_f32 v[194:195], v[36:37], v[194:195]              // 00000000ABCC: D3B140C2 18038524
	v_pk_mul_f32 v[196:197], v[36:37], v[196:197]              // 00000000ABD4: D3B140C4 18038924
	v_pk_mul_f32 v[198:199], v[36:37], v[198:199]              // 00000000ABDC: D3B140C6 18038D24
	v_pk_mul_f32 v[200:201], v[36:37], v[200:201]              // 00000000ABE4: D3B140C8 18039124
	v_pk_mul_f32 v[202:203], v[36:37], v[202:203]              // 00000000ABEC: D3B140CA 18039524
	v_mfma_f32_32x32x64_f8f6f4 v[76:91], a[72:79], v[44:51], v[76:91]// 00000000ABF4: D3AE004C 0D325948
	v_mfma_f32_32x32x64_f8f6f4 v[92:107], a[80:87], v[44:51], v[92:107]// 00000000ABFC: D3AE005C 0D725950
	v_mfma_f32_32x32x64_f8f6f4 v[108:123], a[88:95], v[44:51], v[108:123]// 00000000AC04: D3AE006C 0DB25958
	v_mfma_f32_32x32x64_f8f6f4 v[124:139], a[96:103], v[44:51], v[124:139]// 00000000AC0C: D3AE007C 0DF25960
	v_mfma_f32_32x32x64_f8f6f4 v[140:155], a[104:111], v[44:51], v[140:155]// 00000000AC14: D3AE008C 0E325968
	v_mfma_f32_32x32x64_f8f6f4 v[156:171], a[112:119], v[44:51], v[156:171]// 00000000AC1C: D3AE009C 0E725970
	v_mfma_f32_32x32x64_f8f6f4 v[172:187], a[120:127], v[44:51], v[172:187]// 00000000AC24: D3AE00AC 0EB25978
	v_mfma_f32_32x32x64_f8f6f4 v[188:203], a[128:135], v[44:51], v[188:203]// 00000000AC2C: D3AE00BC 0EF25980
	s_nop 8                                                    // 00000000AC34: BF800008
	s_branch label_9C4C                                        // 00000000AC38: BF8204C4

000000000000ac3c <label_893C>:
	s_waitcnt lgkmcnt(4)                                       // 00000000AC3C: BF8CC47F
	v_mfma_f32_32x32x64_f8f6f4 v[60:75], a[72:79], a[0:7], 0   // 00000000AC40: D3AE003C 1A020148
	v_mfma_f32_32x32x64_f8f6f4 v[60:75], a[80:87], a[8:15], v[60:75]// 00000000AC48: D3AE003C 1CF21150
	v_mfma_f32_32x32x64_f8f6f4 v[60:75], a[88:95], a[16:23], v[60:75]// 00000000AC50: D3AE003C 1CF22158
	ds_read_b64_tr_b8 a[72:73], v5                             // 00000000AC58: DBC40000 48000005
	ds_read_b64_tr_b8 a[74:75], v6                             // 00000000AC60: DBC40000 4A000006
	ds_read_b64_tr_b8 a[76:77], v5 offset:18432                // 00000000AC68: DBC44800 4C000005
	ds_read_b64_tr_b8 a[78:79], v6 offset:18432                // 00000000AC70: DBC44800 4E000006
	v_mfma_f32_32x32x64_f8f6f4 v[60:75], a[96:103], a[24:31], v[60:75]// 00000000AC78: D3AE003C 1CF23160
	ds_read_b64_tr_b8 a[80:81], v7                             // 00000000AC80: DBC40000 50000007
	ds_read_b64_tr_b8 a[82:83], v8                             // 00000000AC88: DBC40000 52000008
	ds_read_b64_tr_b8 a[84:85], v7 offset:18432                // 00000000AC90: DBC44800 54000007
	ds_read_b64_tr_b8 a[86:87], v8 offset:18432                // 00000000AC98: DBC44800 56000008
	v_mfma_f32_32x32x64_f8f6f4 v[60:75], a[104:111], a[32:39], v[60:75]// 00000000ACA0: D3AE003C 1CF24168
	ds_read_b64_tr_b8 a[88:89], v5 offset:1024                 // 00000000ACA8: DBC40400 58000005
	ds_read_b64_tr_b8 a[90:91], v6 offset:1024                 // 00000000ACB0: DBC40400 5A000006
	ds_read_b64_tr_b8 a[92:93], v5 offset:19456                // 00000000ACB8: DBC44C00 5C000005
	ds_read_b64_tr_b8 a[94:95], v6 offset:19456                // 00000000ACC0: DBC44C00 5E000006
	v_mfma_f32_32x32x64_f8f6f4 v[60:75], a[112:119], a[40:47], v[60:75]// 00000000ACC8: D3AE003C 1CF25170
	ds_read_b64_tr_b8 a[96:97], v7 offset:1024                 // 00000000ACD0: DBC40400 60000007
	ds_read_b64_tr_b8 a[98:99], v8 offset:1024                 // 00000000ACD8: DBC40400 62000008
	ds_read_b64_tr_b8 a[100:101], v7 offset:19456              // 00000000ACE0: DBC44C00 64000007
	ds_read_b64_tr_b8 a[102:103], v8 offset:19456              // 00000000ACE8: DBC44C00 66000008
	v_mfma_f32_32x32x64_f8f6f4 v[60:75], a[120:127], a[48:55], v[60:75]// 00000000ACF0: D3AE003C 1CF26178
	ds_read_b64_tr_b8 a[104:105], v5 offset:2048               // 00000000ACF8: DBC40800 68000005
	ds_read_b64_tr_b8 a[106:107], v6 offset:2048               // 00000000AD00: DBC40800 6A000006
	ds_read_b64_tr_b8 a[108:109], v5 offset:20480              // 00000000AD08: DBC45000 6C000005
	ds_read_b64_tr_b8 a[110:111], v6 offset:20480              // 00000000AD10: DBC45000 6E000006
	v_mfma_f32_32x32x64_f8f6f4 v[60:75], a[128:135], a[56:63], v[60:75]// 00000000AD18: D3AE003C 1CF27180
	ds_read_b64_tr_b8 a[112:113], v7 offset:2048               // 00000000AD20: DBC40800 70000007
	ds_read_b64_tr_b8 a[114:115], v8 offset:2048               // 00000000AD28: DBC40800 72000008
	ds_read_b64_tr_b8 a[116:117], v7 offset:20480              // 00000000AD30: DBC45000 74000007
	ds_read_b64_tr_b8 a[118:119], v8 offset:20480              // 00000000AD38: DBC45000 76000008
	v_mfma_f32_32x32x64_f8f6f4 v[60:75], a[136:143], a[64:71], v[60:75]// 00000000AD40: D3AE003C 1CF28188
	ds_read_b64_tr_b8 a[120:121], v5 offset:3072               // 00000000AD48: DBC40C00 78000005
	ds_read_b64_tr_b8 a[122:123], v6 offset:3072               // 00000000AD50: DBC40C00 7A000006
	ds_read_b64_tr_b8 a[124:125], v5 offset:21504              // 00000000AD58: DBC45400 7C000005
	ds_read_b64_tr_b8 a[126:127], v6 offset:21504              // 00000000AD60: DBC45400 7E000006
	ds_read_b64_tr_b8 a[128:129], v7 offset:3072               // 00000000AD68: DBC40C00 80000007
	ds_read_b64_tr_b8 a[130:131], v8 offset:3072               // 00000000AD70: DBC40C00 82000008
	ds_read_b64_tr_b8 a[132:133], v7 offset:21504              // 00000000AD78: DBC45400 84000007
	ds_read_b64_tr_b8 a[134:135], v8 offset:21504              // 00000000AD80: DBC45400 86000008
	s_cmp_le_i32 s83, s82                                      // 00000000AD88: BF055253
	s_cbranch_scc1 label_8C74                                  // 00000000AD8C: BF850079
	s_mov_b32 s36, 0xffff0000                                  // 00000000AD90: BEA400FF FFFF0000
	s_mov_b32 s37, 0xffff0000                                  // 00000000AD98: BEA500FF FFFF0000
	v_mov_b32_e32 v36, s82                                     // 00000000ADA0: 7E480252
	s_add_i32 s56, s82, 1                                      // 00000000ADA4: 81388152
	v_mov_b32_e32 v37, s56                                     // 00000000ADA8: 7E4A0238
	v_cndmask_b32_e64 v35, v36, v37, s[36:37]                  // 00000000ADAC: D1000023 00924B24
	s_and_b32 s56, 2, s7                                       // 00000000ADB4: 86380782
	v_add_i32 v35, s56, v35                                    // 00000000ADB8: D29C0023 00024638
	s_sub_u32 s56, s83, 64                                     // 00000000ADC0: 80B8C053
	v_lshrrev_b32_e32 v204, 5, v0                              // 00000000ADC4: 21980085
	v_mul_i32_i24_e32 v204, 4, v204                            // 00000000ADC8: 0D999884
	v_add_u32_e32 v204, s56, v204                              // 00000000ADCC: 69999838
	s_and_b32 s56, s7, 1                                       // 00000000ADD0: 86388107
	s_mov_b32 s57, 32                                          // 00000000ADD4: BEB900A0
	s_mul_i32 s56, s57, s56                                    // 00000000ADD8: 92383839
	v_add_u32_e32 v204, s56, v204                              // 00000000ADDC: 69999838
	v_add_u32_e32 v205, 1, v204                                // 00000000ADE0: 699B9881
	v_add_u32_e32 v206, 2, v204                                // 00000000ADE4: 699D9882
	v_add_u32_e32 v207, 3, v204                                // 00000000ADE8: 699F9883
	v_mov_b32_e32 v37, 0xff800000                              // 00000000ADEC: 7E4A02FF FF800000
	v_cmp_le_i32_e64 s[36:37], v204, v35                       // 00000000ADF4: D0C30024 000247CC
	s_nop 0                                                    // 00000000ADFC: BF800000
	v_cndmask_b32_e64 v60, v37, v60, s[36:37]                  // 00000000AE00: D100003C 00927925
	v_add_u32_e32 v204, 8, v204                                // 00000000AE08: 69999888
	v_cmp_le_i32_e64 s[36:37], v205, v35                       // 00000000AE0C: D0C30024 000247CD
	s_nop 0                                                    // 00000000AE14: BF800000
	v_cndmask_b32_e64 v61, v37, v61, s[36:37]                  // 00000000AE18: D100003D 00927B25
	v_add_u32_e32 v205, 8, v205                                // 00000000AE20: 699B9A88
	v_cmp_le_i32_e64 s[36:37], v206, v35                       // 00000000AE24: D0C30024 000247CE
	s_nop 0                                                    // 00000000AE2C: BF800000
	v_cndmask_b32_e64 v62, v37, v62, s[36:37]                  // 00000000AE30: D100003E 00927D25
	v_add_u32_e32 v206, 8, v206                                // 00000000AE38: 699D9C88
	v_cmp_le_i32_e64 s[36:37], v207, v35                       // 00000000AE3C: D0C30024 000247CF
	s_nop 0                                                    // 00000000AE44: BF800000
	v_cndmask_b32_e64 v63, v37, v63, s[36:37]                  // 00000000AE48: D100003F 00927F25
	v_add_u32_e32 v207, 8, v207                                // 00000000AE50: 699F9E88
	v_cmp_le_i32_e64 s[36:37], v204, v35                       // 00000000AE54: D0C30024 000247CC
	s_nop 0                                                    // 00000000AE5C: BF800000
	v_cndmask_b32_e64 v64, v37, v64, s[36:37]                  // 00000000AE60: D1000040 00928125
	v_add_u32_e32 v204, 8, v204                                // 00000000AE68: 69999888
	v_cmp_le_i32_e64 s[36:37], v205, v35                       // 00000000AE6C: D0C30024 000247CD
	s_nop 0                                                    // 00000000AE74: BF800000
	v_cndmask_b32_e64 v65, v37, v65, s[36:37]                  // 00000000AE78: D1000041 00928325
	v_add_u32_e32 v205, 8, v205                                // 00000000AE80: 699B9A88
	v_cmp_le_i32_e64 s[36:37], v206, v35                       // 00000000AE84: D0C30024 000247CE
	s_nop 0                                                    // 00000000AE8C: BF800000
	v_cndmask_b32_e64 v66, v37, v66, s[36:37]                  // 00000000AE90: D1000042 00928525
	v_add_u32_e32 v206, 8, v206                                // 00000000AE98: 699D9C88
	v_cmp_le_i32_e64 s[36:37], v207, v35                       // 00000000AE9C: D0C30024 000247CF
	s_nop 0                                                    // 00000000AEA4: BF800000
	v_cndmask_b32_e64 v67, v37, v67, s[36:37]                  // 00000000AEA8: D1000043 00928725
	v_add_u32_e32 v207, 8, v207                                // 00000000AEB0: 699F9E88
	v_cmp_le_i32_e64 s[36:37], v204, v35                       // 00000000AEB4: D0C30024 000247CC
	s_nop 0                                                    // 00000000AEBC: BF800000
	v_cndmask_b32_e64 v68, v37, v68, s[36:37]                  // 00000000AEC0: D1000044 00928925
	v_add_u32_e32 v204, 8, v204                                // 00000000AEC8: 69999888
	v_cmp_le_i32_e64 s[36:37], v205, v35                       // 00000000AECC: D0C30024 000247CD
	s_nop 0                                                    // 00000000AED4: BF800000
	v_cndmask_b32_e64 v69, v37, v69, s[36:37]                  // 00000000AED8: D1000045 00928B25
	v_add_u32_e32 v205, 8, v205                                // 00000000AEE0: 699B9A88
	v_cmp_le_i32_e64 s[36:37], v206, v35                       // 00000000AEE4: D0C30024 000247CE
	s_nop 0                                                    // 00000000AEEC: BF800000
	v_cndmask_b32_e64 v70, v37, v70, s[36:37]                  // 00000000AEF0: D1000046 00928D25
	v_add_u32_e32 v206, 8, v206                                // 00000000AEF8: 699D9C88
	v_cmp_le_i32_e64 s[36:37], v207, v35                       // 00000000AEFC: D0C30024 000247CF
	s_nop 0                                                    // 00000000AF04: BF800000
	v_cndmask_b32_e64 v71, v37, v71, s[36:37]                  // 00000000AF08: D1000047 00928F25
	v_add_u32_e32 v207, 8, v207                                // 00000000AF10: 699F9E88
	v_cmp_le_i32_e64 s[36:37], v204, v35                       // 00000000AF14: D0C30024 000247CC
	s_nop 0                                                    // 00000000AF1C: BF800000
	v_cndmask_b32_e64 v72, v37, v72, s[36:37]                  // 00000000AF20: D1000048 00929125
	v_add_u32_e32 v204, 8, v204                                // 00000000AF28: 69999888
	v_cmp_le_i32_e64 s[36:37], v205, v35                       // 00000000AF2C: D0C30024 000247CD
	s_nop 0                                                    // 00000000AF34: BF800000
	v_cndmask_b32_e64 v73, v37, v73, s[36:37]                  // 00000000AF38: D1000049 00929325
	v_add_u32_e32 v205, 8, v205                                // 00000000AF40: 699B9A88
	v_cmp_le_i32_e64 s[36:37], v206, v35                       // 00000000AF44: D0C30024 000247CE
	s_nop 0                                                    // 00000000AF4C: BF800000
	v_cndmask_b32_e64 v74, v37, v74, s[36:37]                  // 00000000AF50: D100004A 00929525
	v_add_u32_e32 v206, 8, v206                                // 00000000AF58: 699D9C88
	v_cmp_le_i32_e64 s[36:37], v207, v35                       // 00000000AF5C: D0C30024 000247CF
	s_nop 0                                                    // 00000000AF64: BF800000
	v_cndmask_b32_e64 v75, v37, v75, s[36:37]                  // 00000000AF68: D100004B 00929725
	v_add_u32_e32 v207, 8, v207                                // 00000000AF70: 699F9E88

000000000000af74 <label_8C74>:
	s_and_b32 s56, s48, 0xff                                   // 00000000AF74: 8638FF30 000000FF
	v_mov_b32_e32 v36, s56                                     // 00000000AF7C: 7E480238
	v_lshrrev_b32_e32 v204, 5, v0                              // 00000000AF80: 21980085
	v_mul_i32_i24_e32 v204, 4, v204                            // 00000000AF84: 0D999884
	s_and_b32 s56, s7, 1                                       // 00000000AF88: 86388107
	s_mov_b32 s57, 32                                          // 00000000AF8C: BEB900A0
	s_mul_i32 s56, s57, s56                                    // 00000000AF90: 92383839
	v_add_u32_e32 v204, s56, v204                              // 00000000AF94: 69999838
	v_add_u32_e32 v205, 1, v204                                // 00000000AF98: 699B9881
	v_add_u32_e32 v206, 2, v204                                // 00000000AF9C: 699D9882
	v_add_u32_e32 v207, 3, v204                                // 00000000AFA0: 699F9883
	v_mov_b32_e32 v35, 0xff800000                              // 00000000AFA4: 7E4602FF FF800000
	v_cmp_lt_u32_e64 s[36:37], v204, v36                       // 00000000AFAC: D0C90024 000249CC
	v_add_u32_e32 v204, 8, v204                                // 00000000AFB4: 69999888
	s_nop 0                                                    // 00000000AFB8: BF800000
	v_cndmask_b32_e64 v60, v35, v60, s[36:37]                  // 00000000AFBC: D100003C 00927923
	v_cmp_lt_u32_e64 s[36:37], v205, v36                       // 00000000AFC4: D0C90024 000249CD
	v_add_u32_e32 v205, 8, v205                                // 00000000AFCC: 699B9A88
	s_nop 0                                                    // 00000000AFD0: BF800000
	v_cndmask_b32_e64 v61, v35, v61, s[36:37]                  // 00000000AFD4: D100003D 00927B23
	v_cmp_lt_u32_e64 s[36:37], v206, v36                       // 00000000AFDC: D0C90024 000249CE
	v_add_u32_e32 v206, 8, v206                                // 00000000AFE4: 699D9C88
	s_nop 0                                                    // 00000000AFE8: BF800000
	v_cndmask_b32_e64 v62, v35, v62, s[36:37]                  // 00000000AFEC: D100003E 00927D23
	v_cmp_lt_u32_e64 s[36:37], v207, v36                       // 00000000AFF4: D0C90024 000249CF
	v_add_u32_e32 v207, 8, v207                                // 00000000AFFC: 699F9E88
	s_nop 0                                                    // 00000000B000: BF800000
	v_cndmask_b32_e64 v63, v35, v63, s[36:37]                  // 00000000B004: D100003F 00927F23
	v_cmp_lt_u32_e64 s[36:37], v204, v36                       // 00000000B00C: D0C90024 000249CC
	v_add_u32_e32 v204, 8, v204                                // 00000000B014: 69999888
	s_nop 0                                                    // 00000000B018: BF800000
	v_cndmask_b32_e64 v64, v35, v64, s[36:37]                  // 00000000B01C: D1000040 00928123
	v_cmp_lt_u32_e64 s[36:37], v205, v36                       // 00000000B024: D0C90024 000249CD
	v_add_u32_e32 v205, 8, v205                                // 00000000B02C: 699B9A88
	s_nop 0                                                    // 00000000B030: BF800000
	v_cndmask_b32_e64 v65, v35, v65, s[36:37]                  // 00000000B034: D1000041 00928323
	v_cmp_lt_u32_e64 s[36:37], v206, v36                       // 00000000B03C: D0C90024 000249CE
	v_add_u32_e32 v206, 8, v206                                // 00000000B044: 699D9C88
	s_nop 0                                                    // 00000000B048: BF800000
	v_cndmask_b32_e64 v66, v35, v66, s[36:37]                  // 00000000B04C: D1000042 00928523
	v_cmp_lt_u32_e64 s[36:37], v207, v36                       // 00000000B054: D0C90024 000249CF
	v_add_u32_e32 v207, 8, v207                                // 00000000B05C: 699F9E88
	s_nop 0                                                    // 00000000B060: BF800000
	v_cndmask_b32_e64 v67, v35, v67, s[36:37]                  // 00000000B064: D1000043 00928723
	v_cmp_lt_u32_e64 s[36:37], v204, v36                       // 00000000B06C: D0C90024 000249CC
	v_add_u32_e32 v204, 8, v204                                // 00000000B074: 69999888
	s_nop 0                                                    // 00000000B078: BF800000
	v_cndmask_b32_e64 v68, v35, v68, s[36:37]                  // 00000000B07C: D1000044 00928923
	v_cmp_lt_u32_e64 s[36:37], v205, v36                       // 00000000B084: D0C90024 000249CD
	v_add_u32_e32 v205, 8, v205                                // 00000000B08C: 699B9A88
	s_nop 0                                                    // 00000000B090: BF800000
	v_cndmask_b32_e64 v69, v35, v69, s[36:37]                  // 00000000B094: D1000045 00928B23
	v_cmp_lt_u32_e64 s[36:37], v206, v36                       // 00000000B09C: D0C90024 000249CE
	v_add_u32_e32 v206, 8, v206                                // 00000000B0A4: 699D9C88
	s_nop 0                                                    // 00000000B0A8: BF800000
	v_cndmask_b32_e64 v70, v35, v70, s[36:37]                  // 00000000B0AC: D1000046 00928D23
	v_cmp_lt_u32_e64 s[36:37], v207, v36                       // 00000000B0B4: D0C90024 000249CF
	v_add_u32_e32 v207, 8, v207                                // 00000000B0BC: 699F9E88
	s_nop 0                                                    // 00000000B0C0: BF800000
	v_cndmask_b32_e64 v71, v35, v71, s[36:37]                  // 00000000B0C4: D1000047 00928F23
	v_cmp_lt_u32_e64 s[36:37], v204, v36                       // 00000000B0CC: D0C90024 000249CC
	v_add_u32_e32 v204, 8, v204                                // 00000000B0D4: 69999888
	s_nop 0                                                    // 00000000B0D8: BF800000
	v_cndmask_b32_e64 v72, v35, v72, s[36:37]                  // 00000000B0DC: D1000048 00929123
	v_cmp_lt_u32_e64 s[36:37], v205, v36                       // 00000000B0E4: D0C90024 000249CD
	v_add_u32_e32 v205, 8, v205                                // 00000000B0EC: 699B9A88
	s_nop 0                                                    // 00000000B0F0: BF800000
	v_cndmask_b32_e64 v73, v35, v73, s[36:37]                  // 00000000B0F4: D1000049 00929323
	v_cmp_lt_u32_e64 s[36:37], v206, v36                       // 00000000B0FC: D0C90024 000249CE
	v_add_u32_e32 v206, 8, v206                                // 00000000B104: 699D9C88
	s_nop 0                                                    // 00000000B108: BF800000
	v_cndmask_b32_e64 v74, v35, v74, s[36:37]                  // 00000000B10C: D100004A 00929523
	v_cmp_lt_u32_e64 s[36:37], v207, v36                       // 00000000B114: D0C90024 000249CF
	v_add_u32_e32 v207, 8, v207                                // 00000000B11C: 699F9E88
	s_nop 0                                                    // 00000000B120: BF800000
	v_cndmask_b32_e64 v75, v35, v75, s[36:37]                  // 00000000B124: D100004B 00929723
	s_nop 2                                                    // 00000000B12C: BF800002
	v_mov_b32_e32 v213, v60                                    // 00000000B130: 7FAA033C
	v_max3_f32 v213, v60, v61, v213                            // 00000000B134: D1D300D5 07567B3C
	v_max3_f32 v213, v62, v63, v213                            // 00000000B13C: D1D300D5 07567F3E
	v_max3_f32 v213, v64, v65, v213                            // 00000000B144: D1D300D5 07568340
	v_max3_f32 v213, v66, v67, v213                            // 00000000B14C: D1D300D5 07568742
	v_max3_f32 v213, v68, v69, v213                            // 00000000B154: D1D300D5 07568B44
	v_max3_f32 v213, v70, v71, v213                            // 00000000B15C: D1D300D5 07568F46
	v_max3_f32 v213, v72, v73, v213                            // 00000000B164: D1D300D5 07569348
	v_max3_f32 v213, v74, v75, v213                            // 00000000B16C: D1D300D5 0756974A
	v_mov_b32_e32 v35, v213                                    // 00000000B174: 7E4603D5
	v_mov_b32_e32 v36, v213                                    // 00000000B178: 7E4803D5
	s_nop 1                                                    // 00000000B17C: BF800001
	v_permlane32_swap_b32_e32 v35, v36                         // 00000000B180: 7E46B524
	v_max3_f32 v213, v35, v36, v213                            // 00000000B184: D1D300D5 07564923
	ds_write_b32 v41, v213                                     // 00000000B18C: D81A0000 0000D529
	s_waitcnt lgkmcnt(0)                                       // 00000000B194: BF8CC07F
	s_barrier                                                  // 00000000B198: BF8A0000
	ds_read_b32 v35, v40                                       // 00000000B19C: D86C0000 23000028
	ds_read_b32 v36, v40 offset:256                            // 00000000B1A4: D86C0100 24000028
	s_waitcnt lgkmcnt(0)                                       // 00000000B1AC: BF8CC07F
	v_max3_f32 v213, v35, v36, v213                            // 00000000B1B0: D1D300D5 07564923
	v_mov_b32_e32 v35, 0xff800000                              // 00000000B1B8: 7E4602FF FF800000
	v_cmp_eq_u32_e64 s[36:37], v35, v2                         // 00000000B1C0: D0CA0024 00020523
	v_max_f32_e32 v216, v213, v2                               // 00000000B1C8: 17B005D5
	v_sub_f32_e32 v21, v2, v216                                // 00000000B1CC: 042BB102
	v_cndmask_b32_e64 v21, v21, 0, s[36:37]                    // 00000000B1D0: D1000015 00910115
	v_mov_b32_e32 v2, v216                                     // 00000000B1D8: 7E0403D8
	v_mul_f32_e32 v212, s5, v216                               // 00000000B1DC: 0BA9B005
	v_mul_f32_e32 v21, s5, v21                                 // 00000000B1E0: 0A2A2A05
	v_exp_f32_e32 v21, v21                                     // 00000000B1E4: 7E2A4115
	v_fma_f32 v60, v60, s5, -v212                              // 00000000B1E8: D1CB003C 87500B3C
	v_fma_f32 v61, v61, s5, -v212                              // 00000000B1F0: D1CB003D 87500B3D
	v_fma_f32 v62, v62, s5, -v212                              // 00000000B1F8: D1CB003E 87500B3E
	v_fma_f32 v63, v63, s5, -v212                              // 00000000B200: D1CB003F 87500B3F
	v_fma_f32 v64, v64, s5, -v212                              // 00000000B208: D1CB0040 87500B40
	v_fma_f32 v65, v65, s5, -v212                              // 00000000B210: D1CB0041 87500B41
	v_fma_f32 v66, v66, s5, -v212                              // 00000000B218: D1CB0042 87500B42
	v_fma_f32 v67, v67, s5, -v212                              // 00000000B220: D1CB0043 87500B43
	v_fma_f32 v68, v68, s5, -v212                              // 00000000B228: D1CB0044 87500B44
	v_fma_f32 v69, v69, s5, -v212                              // 00000000B230: D1CB0045 87500B45
	v_fma_f32 v70, v70, s5, -v212                              // 00000000B238: D1CB0046 87500B46
	v_fma_f32 v71, v71, s5, -v212                              // 00000000B240: D1CB0047 87500B47
	v_fma_f32 v72, v72, s5, -v212                              // 00000000B248: D1CB0048 87500B48
	v_fma_f32 v73, v73, s5, -v212                              // 00000000B250: D1CB0049 87500B49
	v_fma_f32 v74, v74, s5, -v212                              // 00000000B258: D1CB004A 87500B4A
	v_fma_f32 v75, v75, s5, -v212                              // 00000000B260: D1CB004B 87500B4B
	v_mov_b32_e32 v35, 0xffc00000                              // 00000000B268: 7E4602FF FFC00000
	v_exp_f32_e32 v60, v60                                     // 00000000B270: 7E78413C
	v_exp_f32_e32 v61, v61                                     // 00000000B274: 7E7A413D
	v_exp_f32_e32 v62, v62                                     // 00000000B278: 7E7C413E
	v_exp_f32_e32 v63, v63                                     // 00000000B27C: 7E7E413F
	v_exp_f32_e32 v64, v64                                     // 00000000B280: 7E804140
	v_exp_f32_e32 v65, v65                                     // 00000000B284: 7E824141
	v_exp_f32_e32 v66, v66                                     // 00000000B288: 7E844142
	v_exp_f32_e32 v67, v67                                     // 00000000B28C: 7E864143
	v_exp_f32_e32 v68, v68                                     // 00000000B290: 7E884144
	v_exp_f32_e32 v69, v69                                     // 00000000B294: 7E8A4145
	v_exp_f32_e32 v70, v70                                     // 00000000B298: 7E8C4146
	v_exp_f32_e32 v71, v71                                     // 00000000B29C: 7E8E4147
	v_exp_f32_e32 v72, v72                                     // 00000000B2A0: 7E904148
	v_exp_f32_e32 v73, v73                                     // 00000000B2A4: 7E924149
	v_exp_f32_e32 v74, v74                                     // 00000000B2A8: 7E94414A
	v_exp_f32_e32 v75, v75                                     // 00000000B2AC: 7E96414B
	v_mul_f32_e32 v4, v21, v4                                  // 00000000B2B0: 0A080915
	v_mov_b32_e32 v35, v60                                     // 00000000B2B4: 7E46033C
	v_add_f32_e32 v35, v61, v35                                // 00000000B2B8: 0246473D
	v_add_f32_e32 v35, v62, v35                                // 00000000B2BC: 0246473E
	v_add_f32_e32 v35, v63, v35                                // 00000000B2C0: 0246473F
	v_add_f32_e32 v35, v64, v35                                // 00000000B2C4: 02464740
	v_add_f32_e32 v35, v65, v35                                // 00000000B2C8: 02464741
	v_add_f32_e32 v35, v66, v35                                // 00000000B2CC: 02464742
	v_add_f32_e32 v35, v67, v35                                // 00000000B2D0: 02464743
	v_add_f32_e32 v35, v68, v35                                // 00000000B2D4: 02464744
	v_add_f32_e32 v35, v69, v35                                // 00000000B2D8: 02464745
	v_add_f32_e32 v35, v70, v35                                // 00000000B2DC: 02464746
	v_add_f32_e32 v35, v71, v35                                // 00000000B2E0: 02464747
	v_add_f32_e32 v35, v72, v35                                // 00000000B2E4: 02464748
	v_add_f32_e32 v35, v73, v35                                // 00000000B2E8: 02464749
	v_add_f32_e32 v35, v74, v35                                // 00000000B2EC: 0246474A
	v_add_f32_e32 v35, v75, v35                                // 00000000B2F0: 0246474B
	v_add_f32_e32 v4, v35, v4                                  // 00000000B2F4: 02080923
	v_cvt_pk_fp8_f32 v60, v60, v61                             // 00000000B2F8: D2A2003C 00027B3C
	v_cvt_pk_fp8_f32 v60, v62, v63 op_sel:[0,0,1]              // 00000000B300: D2A2403C 00027F3E
	v_cvt_pk_fp8_f32 v61, v64, v65                             // 00000000B308: D2A2003D 00028340
	v_cvt_pk_fp8_f32 v61, v66, v67 op_sel:[0,0,1]              // 00000000B310: D2A2403D 00028742
	v_cvt_pk_fp8_f32 v62, v68, v69                             // 00000000B318: D2A2003E 00028B44
	v_cvt_pk_fp8_f32 v62, v70, v71 op_sel:[0,0,1]              // 00000000B320: D2A2403E 00028F46
	v_cvt_pk_fp8_f32 v63, v72, v73                             // 00000000B328: D2A2003F 00029348
	v_cvt_pk_fp8_f32 v63, v74, v75 op_sel:[0,0,1]              // 00000000B330: D2A2403F 0002974A
	ds_write_b128 v43, v[60:63] offset:1024                    // 00000000B338: D9BE0400 00003C2B
	s_waitcnt lgkmcnt(0)                                       // 00000000B340: BF8CC07F
	s_barrier                                                  // 00000000B344: BF8A0000
	ds_read_b128 v[60:63], v42 offset:1024                     // 00000000B348: D9FE0400 3C00002A
	ds_read_b128 v[64:67], v42 offset:2048                     // 00000000B350: D9FE0800 4000002A
	s_waitcnt lgkmcnt(0)                                       // 00000000B358: BF8CC07F
	v_permlane32_swap_b32_e32 v60, v62                         // 00000000B35C: 7E78B53E
	v_permlane32_swap_b32_e32 v61, v63                         // 00000000B360: 7E7AB53F
	v_swap_b32 v61, v62                                        // 00000000B364: 7E7AA33E
	v_permlane32_swap_b32_e32 v64, v66                         // 00000000B368: 7E80B542
	v_permlane32_swap_b32_e32 v65, v67                         // 00000000B36C: 7E82B543
	v_swap_b32 v65, v66                                        // 00000000B370: 7E82A342
	v_mov_b32_e32 v36, v21                                     // 00000000B374: 7E480315
	v_mov_b32_e32 v37, v21                                     // 00000000B378: 7E4A0315
	v_pk_mul_f32 v[76:77], v[36:37], v[76:77]                  // 00000000B37C: D3B1404C 18029924
	v_pk_mul_f32 v[78:79], v[36:37], v[78:79]                  // 00000000B384: D3B1404E 18029D24
	v_pk_mul_f32 v[80:81], v[36:37], v[80:81]                  // 00000000B38C: D3B14050 1802A124
	v_pk_mul_f32 v[82:83], v[36:37], v[82:83]                  // 00000000B394: D3B14052 1802A524
	v_pk_mul_f32 v[84:85], v[36:37], v[84:85]                  // 00000000B39C: D3B14054 1802A924
	v_pk_mul_f32 v[86:87], v[36:37], v[86:87]                  // 00000000B3A4: D3B14056 1802AD24
	v_pk_mul_f32 v[88:89], v[36:37], v[88:89]                  // 00000000B3AC: D3B14058 1802B124
	v_pk_mul_f32 v[90:91], v[36:37], v[90:91]                  // 00000000B3B4: D3B1405A 1802B524
	v_pk_mul_f32 v[92:93], v[36:37], v[92:93]                  // 00000000B3BC: D3B1405C 1802B924
	v_pk_mul_f32 v[94:95], v[36:37], v[94:95]                  // 00000000B3C4: D3B1405E 1802BD24
	v_pk_mul_f32 v[96:97], v[36:37], v[96:97]                  // 00000000B3CC: D3B14060 1802C124
	v_pk_mul_f32 v[98:99], v[36:37], v[98:99]                  // 00000000B3D4: D3B14062 1802C524
	v_pk_mul_f32 v[100:101], v[36:37], v[100:101]              // 00000000B3DC: D3B14064 1802C924
	v_pk_mul_f32 v[102:103], v[36:37], v[102:103]              // 00000000B3E4: D3B14066 1802CD24
	v_pk_mul_f32 v[104:105], v[36:37], v[104:105]              // 00000000B3EC: D3B14068 1802D124
	v_pk_mul_f32 v[106:107], v[36:37], v[106:107]              // 00000000B3F4: D3B1406A 1802D524
	v_pk_mul_f32 v[108:109], v[36:37], v[108:109]              // 00000000B3FC: D3B1406C 1802D924
	v_pk_mul_f32 v[110:111], v[36:37], v[110:111]              // 00000000B404: D3B1406E 1802DD24
	v_pk_mul_f32 v[112:113], v[36:37], v[112:113]              // 00000000B40C: D3B14070 1802E124
	v_pk_mul_f32 v[114:115], v[36:37], v[114:115]              // 00000000B414: D3B14072 1802E524
	v_pk_mul_f32 v[116:117], v[36:37], v[116:117]              // 00000000B41C: D3B14074 1802E924
	v_pk_mul_f32 v[118:119], v[36:37], v[118:119]              // 00000000B424: D3B14076 1802ED24
	v_pk_mul_f32 v[120:121], v[36:37], v[120:121]              // 00000000B42C: D3B14078 1802F124
	v_pk_mul_f32 v[122:123], v[36:37], v[122:123]              // 00000000B434: D3B1407A 1802F524
	v_pk_mul_f32 v[124:125], v[36:37], v[124:125]              // 00000000B43C: D3B1407C 1802F924
	v_pk_mul_f32 v[126:127], v[36:37], v[126:127]              // 00000000B444: D3B1407E 1802FD24
	v_pk_mul_f32 v[128:129], v[36:37], v[128:129]              // 00000000B44C: D3B14080 18030124
	v_pk_mul_f32 v[130:131], v[36:37], v[130:131]              // 00000000B454: D3B14082 18030524
	v_pk_mul_f32 v[132:133], v[36:37], v[132:133]              // 00000000B45C: D3B14084 18030924
	v_pk_mul_f32 v[134:135], v[36:37], v[134:135]              // 00000000B464: D3B14086 18030D24
	v_pk_mul_f32 v[136:137], v[36:37], v[136:137]              // 00000000B46C: D3B14088 18031124
	v_pk_mul_f32 v[138:139], v[36:37], v[138:139]              // 00000000B474: D3B1408A 18031524
	v_pk_mul_f32 v[140:141], v[36:37], v[140:141]              // 00000000B47C: D3B1408C 18031924
	v_pk_mul_f32 v[142:143], v[36:37], v[142:143]              // 00000000B484: D3B1408E 18031D24
	v_pk_mul_f32 v[144:145], v[36:37], v[144:145]              // 00000000B48C: D3B14090 18032124
	v_pk_mul_f32 v[146:147], v[36:37], v[146:147]              // 00000000B494: D3B14092 18032524
	v_pk_mul_f32 v[148:149], v[36:37], v[148:149]              // 00000000B49C: D3B14094 18032924
	v_pk_mul_f32 v[150:151], v[36:37], v[150:151]              // 00000000B4A4: D3B14096 18032D24
	v_pk_mul_f32 v[152:153], v[36:37], v[152:153]              // 00000000B4AC: D3B14098 18033124
	v_pk_mul_f32 v[154:155], v[36:37], v[154:155]              // 00000000B4B4: D3B1409A 18033524
	v_pk_mul_f32 v[156:157], v[36:37], v[156:157]              // 00000000B4BC: D3B1409C 18033924
	v_pk_mul_f32 v[158:159], v[36:37], v[158:159]              // 00000000B4C4: D3B1409E 18033D24
	v_pk_mul_f32 v[160:161], v[36:37], v[160:161]              // 00000000B4CC: D3B140A0 18034124
	v_pk_mul_f32 v[162:163], v[36:37], v[162:163]              // 00000000B4D4: D3B140A2 18034524
	v_pk_mul_f32 v[164:165], v[36:37], v[164:165]              // 00000000B4DC: D3B140A4 18034924
	v_pk_mul_f32 v[166:167], v[36:37], v[166:167]              // 00000000B4E4: D3B140A6 18034D24
	v_pk_mul_f32 v[168:169], v[36:37], v[168:169]              // 00000000B4EC: D3B140A8 18035124
	v_pk_mul_f32 v[170:171], v[36:37], v[170:171]              // 00000000B4F4: D3B140AA 18035524
	v_pk_mul_f32 v[172:173], v[36:37], v[172:173]              // 00000000B4FC: D3B140AC 18035924
	v_pk_mul_f32 v[174:175], v[36:37], v[174:175]              // 00000000B504: D3B140AE 18035D24
	v_pk_mul_f32 v[176:177], v[36:37], v[176:177]              // 00000000B50C: D3B140B0 18036124
	v_pk_mul_f32 v[178:179], v[36:37], v[178:179]              // 00000000B514: D3B140B2 18036524
	v_pk_mul_f32 v[180:181], v[36:37], v[180:181]              // 00000000B51C: D3B140B4 18036924
	v_pk_mul_f32 v[182:183], v[36:37], v[182:183]              // 00000000B524: D3B140B6 18036D24
	v_pk_mul_f32 v[184:185], v[36:37], v[184:185]              // 00000000B52C: D3B140B8 18037124
	v_pk_mul_f32 v[186:187], v[36:37], v[186:187]              // 00000000B534: D3B140BA 18037524
	v_pk_mul_f32 v[188:189], v[36:37], v[188:189]              // 00000000B53C: D3B140BC 18037924
	v_pk_mul_f32 v[190:191], v[36:37], v[190:191]              // 00000000B544: D3B140BE 18037D24
	v_pk_mul_f32 v[192:193], v[36:37], v[192:193]              // 00000000B54C: D3B140C0 18038124
	v_pk_mul_f32 v[194:195], v[36:37], v[194:195]              // 00000000B554: D3B140C2 18038524
	v_pk_mul_f32 v[196:197], v[36:37], v[196:197]              // 00000000B55C: D3B140C4 18038924
	v_pk_mul_f32 v[198:199], v[36:37], v[198:199]              // 00000000B564: D3B140C6 18038D24
	v_pk_mul_f32 v[200:201], v[36:37], v[200:201]              // 00000000B56C: D3B140C8 18039124
	v_pk_mul_f32 v[202:203], v[36:37], v[202:203]              // 00000000B574: D3B140CA 18039524
	v_mfma_f32_32x32x64_f8f6f4 v[76:91], a[72:79], v[60:67], v[76:91]// 00000000B57C: D3AE004C 0D327948
	v_mfma_f32_32x32x64_f8f6f4 v[92:107], a[80:87], v[60:67], v[92:107]// 00000000B584: D3AE005C 0D727950
	v_mfma_f32_32x32x64_f8f6f4 v[108:123], a[88:95], v[60:67], v[108:123]// 00000000B58C: D3AE006C 0DB27958
	v_mfma_f32_32x32x64_f8f6f4 v[124:139], a[96:103], v[60:67], v[124:139]// 00000000B594: D3AE007C 0DF27960
	v_mfma_f32_32x32x64_f8f6f4 v[140:155], a[104:111], v[60:67], v[140:155]// 00000000B59C: D3AE008C 0E327968
	v_mfma_f32_32x32x64_f8f6f4 v[156:171], a[112:119], v[60:67], v[156:171]// 00000000B5A4: D3AE009C 0E727970
	v_mfma_f32_32x32x64_f8f6f4 v[172:187], a[120:127], v[60:67], v[172:187]// 00000000B5AC: D3AE00AC 0EB27978
	v_mfma_f32_32x32x64_f8f6f4 v[188:203], a[128:135], v[60:67], v[188:203]// 00000000B5B4: D3AE00BC 0EF27980
	s_nop 8                                                    // 00000000B5BC: BF800008
	s_branch label_9C4C                                        // 00000000B5C0: BF820262

000000000000b5c4 <label_92C4>:
	s_waitcnt lgkmcnt(4)                                       // 00000000B5C4: BF8CC47F
	v_mfma_f32_32x32x64_f8f6f4 v[44:59], a[72:79], a[0:7], 0   // 00000000B5C8: D3AE002C 1A020148
	v_mfma_f32_32x32x64_f8f6f4 v[44:59], a[80:87], a[8:15], v[44:59]// 00000000B5D0: D3AE002C 1CB21150
	v_mfma_f32_32x32x64_f8f6f4 v[44:59], a[88:95], a[16:23], v[44:59]// 00000000B5D8: D3AE002C 1CB22158
	ds_read_b64_tr_b8 a[72:73], v9                             // 00000000B5E0: DBC40000 48000009
	ds_read_b64_tr_b8 a[74:75], v10                            // 00000000B5E8: DBC40000 4A00000A
	ds_read_b64_tr_b8 a[76:77], v9 offset:18432                // 00000000B5F0: DBC44800 4C000009
	ds_read_b64_tr_b8 a[78:79], v10 offset:18432               // 00000000B5F8: DBC44800 4E00000A
	v_mfma_f32_32x32x64_f8f6f4 v[44:59], a[96:103], a[24:31], v[44:59]// 00000000B600: D3AE002C 1CB23160
	ds_read_b64_tr_b8 a[80:81], v11                            // 00000000B608: DBC40000 5000000B
	ds_read_b64_tr_b8 a[82:83], v12                            // 00000000B610: DBC40000 5200000C
	ds_read_b64_tr_b8 a[84:85], v11 offset:18432               // 00000000B618: DBC44800 5400000B
	ds_read_b64_tr_b8 a[86:87], v12 offset:18432               // 00000000B620: DBC44800 5600000C
	v_mfma_f32_32x32x64_f8f6f4 v[44:59], a[104:111], a[32:39], v[44:59]// 00000000B628: D3AE002C 1CB24168
	ds_read_b64_tr_b8 a[88:89], v9 offset:1024                 // 00000000B630: DBC40400 58000009
	ds_read_b64_tr_b8 a[90:91], v10 offset:1024                // 00000000B638: DBC40400 5A00000A
	ds_read_b64_tr_b8 a[92:93], v9 offset:19456                // 00000000B640: DBC44C00 5C000009
	ds_read_b64_tr_b8 a[94:95], v10 offset:19456               // 00000000B648: DBC44C00 5E00000A
	v_mfma_f32_32x32x64_f8f6f4 v[44:59], a[112:119], a[40:47], v[44:59]// 00000000B650: D3AE002C 1CB25170
	ds_read_b64_tr_b8 a[96:97], v11 offset:1024                // 00000000B658: DBC40400 6000000B
	ds_read_b64_tr_b8 a[98:99], v12 offset:1024                // 00000000B660: DBC40400 6200000C
	ds_read_b64_tr_b8 a[100:101], v11 offset:19456             // 00000000B668: DBC44C00 6400000B
	ds_read_b64_tr_b8 a[102:103], v12 offset:19456             // 00000000B670: DBC44C00 6600000C
	v_mfma_f32_32x32x64_f8f6f4 v[44:59], a[120:127], a[48:55], v[44:59]// 00000000B678: D3AE002C 1CB26178
	ds_read_b64_tr_b8 a[104:105], v9 offset:2048               // 00000000B680: DBC40800 68000009
	ds_read_b64_tr_b8 a[106:107], v10 offset:2048              // 00000000B688: DBC40800 6A00000A
	ds_read_b64_tr_b8 a[108:109], v9 offset:20480              // 00000000B690: DBC45000 6C000009
	ds_read_b64_tr_b8 a[110:111], v10 offset:20480             // 00000000B698: DBC45000 6E00000A
	v_mfma_f32_32x32x64_f8f6f4 v[44:59], a[128:135], a[56:63], v[44:59]// 00000000B6A0: D3AE002C 1CB27180
	ds_read_b64_tr_b8 a[112:113], v11 offset:2048              // 00000000B6A8: DBC40800 7000000B
	ds_read_b64_tr_b8 a[114:115], v12 offset:2048              // 00000000B6B0: DBC40800 7200000C
	ds_read_b64_tr_b8 a[116:117], v11 offset:20480             // 00000000B6B8: DBC45000 7400000B
	ds_read_b64_tr_b8 a[118:119], v12 offset:20480             // 00000000B6C0: DBC45000 7600000C
	v_mfma_f32_32x32x64_f8f6f4 v[44:59], a[136:143], a[64:71], v[44:59]// 00000000B6C8: D3AE002C 1CB28188
	ds_read_b64_tr_b8 a[120:121], v9 offset:3072               // 00000000B6D0: DBC40C00 78000009
	ds_read_b64_tr_b8 a[122:123], v10 offset:3072              // 00000000B6D8: DBC40C00 7A00000A
	ds_read_b64_tr_b8 a[124:125], v9 offset:21504              // 00000000B6E0: DBC45400 7C000009
	ds_read_b64_tr_b8 a[126:127], v10 offset:21504             // 00000000B6E8: DBC45400 7E00000A
	ds_read_b64_tr_b8 a[128:129], v11 offset:3072              // 00000000B6F0: DBC40C00 8000000B
	ds_read_b64_tr_b8 a[130:131], v12 offset:3072              // 00000000B6F8: DBC40C00 8200000C
	ds_read_b64_tr_b8 a[132:133], v11 offset:21504             // 00000000B700: DBC45400 8400000B
	ds_read_b64_tr_b8 a[134:135], v12 offset:21504             // 00000000B708: DBC45400 8600000C
	s_cmp_le_i32 s83, s82                                      // 00000000B710: BF055253
	s_cbranch_scc1 label_95FC                                  // 00000000B714: BF850079
	s_mov_b32 s36, 0xffff0000                                  // 00000000B718: BEA400FF FFFF0000
	s_mov_b32 s37, 0xffff0000                                  // 00000000B720: BEA500FF FFFF0000
	v_mov_b32_e32 v36, s82                                     // 00000000B728: 7E480252
	s_add_i32 s56, s82, 1                                      // 00000000B72C: 81388152
	v_mov_b32_e32 v37, s56                                     // 00000000B730: 7E4A0238
	v_cndmask_b32_e64 v35, v36, v37, s[36:37]                  // 00000000B734: D1000023 00924B24
	s_and_b32 s56, 2, s7                                       // 00000000B73C: 86380782
	v_add_i32 v35, s56, v35                                    // 00000000B740: D29C0023 00024638
	s_sub_u32 s56, s83, 64                                     // 00000000B748: 80B8C053
	v_lshrrev_b32_e32 v204, 5, v0                              // 00000000B74C: 21980085
	v_mul_i32_i24_e32 v204, 4, v204                            // 00000000B750: 0D999884
	v_add_u32_e32 v204, s56, v204                              // 00000000B754: 69999838
	s_and_b32 s56, s7, 1                                       // 00000000B758: 86388107
	s_mov_b32 s57, 32                                          // 00000000B75C: BEB900A0
	s_mul_i32 s56, s57, s56                                    // 00000000B760: 92383839
	v_add_u32_e32 v204, s56, v204                              // 00000000B764: 69999838
	v_add_u32_e32 v205, 1, v204                                // 00000000B768: 699B9881
	v_add_u32_e32 v206, 2, v204                                // 00000000B76C: 699D9882
	v_add_u32_e32 v207, 3, v204                                // 00000000B770: 699F9883
	v_mov_b32_e32 v37, 0xff800000                              // 00000000B774: 7E4A02FF FF800000
	v_cmp_le_i32_e64 s[36:37], v204, v35                       // 00000000B77C: D0C30024 000247CC
	s_nop 0                                                    // 00000000B784: BF800000
	v_cndmask_b32_e64 v44, v37, v44, s[36:37]                  // 00000000B788: D100002C 00925925
	v_add_u32_e32 v204, 8, v204                                // 00000000B790: 69999888
	v_cmp_le_i32_e64 s[36:37], v205, v35                       // 00000000B794: D0C30024 000247CD
	s_nop 0                                                    // 00000000B79C: BF800000
	v_cndmask_b32_e64 v45, v37, v45, s[36:37]                  // 00000000B7A0: D100002D 00925B25
	v_add_u32_e32 v205, 8, v205                                // 00000000B7A8: 699B9A88
	v_cmp_le_i32_e64 s[36:37], v206, v35                       // 00000000B7AC: D0C30024 000247CE
	s_nop 0                                                    // 00000000B7B4: BF800000
	v_cndmask_b32_e64 v46, v37, v46, s[36:37]                  // 00000000B7B8: D100002E 00925D25
	v_add_u32_e32 v206, 8, v206                                // 00000000B7C0: 699D9C88
	v_cmp_le_i32_e64 s[36:37], v207, v35                       // 00000000B7C4: D0C30024 000247CF
	s_nop 0                                                    // 00000000B7CC: BF800000
	v_cndmask_b32_e64 v47, v37, v47, s[36:37]                  // 00000000B7D0: D100002F 00925F25
	v_add_u32_e32 v207, 8, v207                                // 00000000B7D8: 699F9E88
	v_cmp_le_i32_e64 s[36:37], v204, v35                       // 00000000B7DC: D0C30024 000247CC
	s_nop 0                                                    // 00000000B7E4: BF800000
	v_cndmask_b32_e64 v48, v37, v48, s[36:37]                  // 00000000B7E8: D1000030 00926125
	v_add_u32_e32 v204, 8, v204                                // 00000000B7F0: 69999888
	v_cmp_le_i32_e64 s[36:37], v205, v35                       // 00000000B7F4: D0C30024 000247CD
	s_nop 0                                                    // 00000000B7FC: BF800000
	v_cndmask_b32_e64 v49, v37, v49, s[36:37]                  // 00000000B800: D1000031 00926325
	v_add_u32_e32 v205, 8, v205                                // 00000000B808: 699B9A88
	v_cmp_le_i32_e64 s[36:37], v206, v35                       // 00000000B80C: D0C30024 000247CE
	s_nop 0                                                    // 00000000B814: BF800000
	v_cndmask_b32_e64 v50, v37, v50, s[36:37]                  // 00000000B818: D1000032 00926525
	v_add_u32_e32 v206, 8, v206                                // 00000000B820: 699D9C88
	v_cmp_le_i32_e64 s[36:37], v207, v35                       // 00000000B824: D0C30024 000247CF
	s_nop 0                                                    // 00000000B82C: BF800000
	v_cndmask_b32_e64 v51, v37, v51, s[36:37]                  // 00000000B830: D1000033 00926725
	v_add_u32_e32 v207, 8, v207                                // 00000000B838: 699F9E88
	v_cmp_le_i32_e64 s[36:37], v204, v35                       // 00000000B83C: D0C30024 000247CC
	s_nop 0                                                    // 00000000B844: BF800000
	v_cndmask_b32_e64 v52, v37, v52, s[36:37]                  // 00000000B848: D1000034 00926925
	v_add_u32_e32 v204, 8, v204                                // 00000000B850: 69999888
	v_cmp_le_i32_e64 s[36:37], v205, v35                       // 00000000B854: D0C30024 000247CD
	s_nop 0                                                    // 00000000B85C: BF800000
	v_cndmask_b32_e64 v53, v37, v53, s[36:37]                  // 00000000B860: D1000035 00926B25
	v_add_u32_e32 v205, 8, v205                                // 00000000B868: 699B9A88
	v_cmp_le_i32_e64 s[36:37], v206, v35                       // 00000000B86C: D0C30024 000247CE
	s_nop 0                                                    // 00000000B874: BF800000
	v_cndmask_b32_e64 v54, v37, v54, s[36:37]                  // 00000000B878: D1000036 00926D25
	v_add_u32_e32 v206, 8, v206                                // 00000000B880: 699D9C88
	v_cmp_le_i32_e64 s[36:37], v207, v35                       // 00000000B884: D0C30024 000247CF
	s_nop 0                                                    // 00000000B88C: BF800000
	v_cndmask_b32_e64 v55, v37, v55, s[36:37]                  // 00000000B890: D1000037 00926F25
	v_add_u32_e32 v207, 8, v207                                // 00000000B898: 699F9E88
	v_cmp_le_i32_e64 s[36:37], v204, v35                       // 00000000B89C: D0C30024 000247CC
	s_nop 0                                                    // 00000000B8A4: BF800000
	v_cndmask_b32_e64 v56, v37, v56, s[36:37]                  // 00000000B8A8: D1000038 00927125
	v_add_u32_e32 v204, 8, v204                                // 00000000B8B0: 69999888
	v_cmp_le_i32_e64 s[36:37], v205, v35                       // 00000000B8B4: D0C30024 000247CD
	s_nop 0                                                    // 00000000B8BC: BF800000
	v_cndmask_b32_e64 v57, v37, v57, s[36:37]                  // 00000000B8C0: D1000039 00927325
	v_add_u32_e32 v205, 8, v205                                // 00000000B8C8: 699B9A88
	v_cmp_le_i32_e64 s[36:37], v206, v35                       // 00000000B8CC: D0C30024 000247CE
	s_nop 0                                                    // 00000000B8D4: BF800000
	v_cndmask_b32_e64 v58, v37, v58, s[36:37]                  // 00000000B8D8: D100003A 00927525
	v_add_u32_e32 v206, 8, v206                                // 00000000B8E0: 699D9C88
	v_cmp_le_i32_e64 s[36:37], v207, v35                       // 00000000B8E4: D0C30024 000247CF
	s_nop 0                                                    // 00000000B8EC: BF800000
	v_cndmask_b32_e64 v59, v37, v59, s[36:37]                  // 00000000B8F0: D100003B 00927725
	v_add_u32_e32 v207, 8, v207                                // 00000000B8F8: 699F9E88

000000000000b8fc <label_95FC>:
	s_and_b32 s56, s48, 0xff                                   // 00000000B8FC: 8638FF30 000000FF
	v_mov_b32_e32 v36, s56                                     // 00000000B904: 7E480238
	v_lshrrev_b32_e32 v204, 5, v0                              // 00000000B908: 21980085
	v_mul_i32_i24_e32 v204, 4, v204                            // 00000000B90C: 0D999884
	s_and_b32 s56, s7, 1                                       // 00000000B910: 86388107
	s_mov_b32 s57, 32                                          // 00000000B914: BEB900A0
	s_mul_i32 s56, s57, s56                                    // 00000000B918: 92383839
	v_add_u32_e32 v204, s56, v204                              // 00000000B91C: 69999838
	v_add_u32_e32 v205, 1, v204                                // 00000000B920: 699B9881
	v_add_u32_e32 v206, 2, v204                                // 00000000B924: 699D9882
	v_add_u32_e32 v207, 3, v204                                // 00000000B928: 699F9883
	v_mov_b32_e32 v35, 0xff800000                              // 00000000B92C: 7E4602FF FF800000
	v_cmp_lt_u32_e64 s[36:37], v204, v36                       // 00000000B934: D0C90024 000249CC
	v_add_u32_e32 v204, 8, v204                                // 00000000B93C: 69999888
	s_nop 0                                                    // 00000000B940: BF800000
	v_cndmask_b32_e64 v44, v35, v44, s[36:37]                  // 00000000B944: D100002C 00925923
	v_cmp_lt_u32_e64 s[36:37], v205, v36                       // 00000000B94C: D0C90024 000249CD
	v_add_u32_e32 v205, 8, v205                                // 00000000B954: 699B9A88
	s_nop 0                                                    // 00000000B958: BF800000
	v_cndmask_b32_e64 v45, v35, v45, s[36:37]                  // 00000000B95C: D100002D 00925B23
	v_cmp_lt_u32_e64 s[36:37], v206, v36                       // 00000000B964: D0C90024 000249CE
	v_add_u32_e32 v206, 8, v206                                // 00000000B96C: 699D9C88
	s_nop 0                                                    // 00000000B970: BF800000
	v_cndmask_b32_e64 v46, v35, v46, s[36:37]                  // 00000000B974: D100002E 00925D23
	v_cmp_lt_u32_e64 s[36:37], v207, v36                       // 00000000B97C: D0C90024 000249CF
	v_add_u32_e32 v207, 8, v207                                // 00000000B984: 699F9E88
	s_nop 0                                                    // 00000000B988: BF800000
	v_cndmask_b32_e64 v47, v35, v47, s[36:37]                  // 00000000B98C: D100002F 00925F23
	v_cmp_lt_u32_e64 s[36:37], v204, v36                       // 00000000B994: D0C90024 000249CC
	v_add_u32_e32 v204, 8, v204                                // 00000000B99C: 69999888
	s_nop 0                                                    // 00000000B9A0: BF800000
	v_cndmask_b32_e64 v48, v35, v48, s[36:37]                  // 00000000B9A4: D1000030 00926123
	v_cmp_lt_u32_e64 s[36:37], v205, v36                       // 00000000B9AC: D0C90024 000249CD
	v_add_u32_e32 v205, 8, v205                                // 00000000B9B4: 699B9A88
	s_nop 0                                                    // 00000000B9B8: BF800000
	v_cndmask_b32_e64 v49, v35, v49, s[36:37]                  // 00000000B9BC: D1000031 00926323
	v_cmp_lt_u32_e64 s[36:37], v206, v36                       // 00000000B9C4: D0C90024 000249CE
	v_add_u32_e32 v206, 8, v206                                // 00000000B9CC: 699D9C88
	s_nop 0                                                    // 00000000B9D0: BF800000
	v_cndmask_b32_e64 v50, v35, v50, s[36:37]                  // 00000000B9D4: D1000032 00926523
	v_cmp_lt_u32_e64 s[36:37], v207, v36                       // 00000000B9DC: D0C90024 000249CF
	v_add_u32_e32 v207, 8, v207                                // 00000000B9E4: 699F9E88
	s_nop 0                                                    // 00000000B9E8: BF800000
	v_cndmask_b32_e64 v51, v35, v51, s[36:37]                  // 00000000B9EC: D1000033 00926723
	v_cmp_lt_u32_e64 s[36:37], v204, v36                       // 00000000B9F4: D0C90024 000249CC
	v_add_u32_e32 v204, 8, v204                                // 00000000B9FC: 69999888
	s_nop 0                                                    // 00000000BA00: BF800000
	v_cndmask_b32_e64 v52, v35, v52, s[36:37]                  // 00000000BA04: D1000034 00926923
	v_cmp_lt_u32_e64 s[36:37], v205, v36                       // 00000000BA0C: D0C90024 000249CD
	v_add_u32_e32 v205, 8, v205                                // 00000000BA14: 699B9A88
	s_nop 0                                                    // 00000000BA18: BF800000
	v_cndmask_b32_e64 v53, v35, v53, s[36:37]                  // 00000000BA1C: D1000035 00926B23
	v_cmp_lt_u32_e64 s[36:37], v206, v36                       // 00000000BA24: D0C90024 000249CE
	v_add_u32_e32 v206, 8, v206                                // 00000000BA2C: 699D9C88
	s_nop 0                                                    // 00000000BA30: BF800000
	v_cndmask_b32_e64 v54, v35, v54, s[36:37]                  // 00000000BA34: D1000036 00926D23
	v_cmp_lt_u32_e64 s[36:37], v207, v36                       // 00000000BA3C: D0C90024 000249CF
	v_add_u32_e32 v207, 8, v207                                // 00000000BA44: 699F9E88
	s_nop 0                                                    // 00000000BA48: BF800000
	v_cndmask_b32_e64 v55, v35, v55, s[36:37]                  // 00000000BA4C: D1000037 00926F23
	v_cmp_lt_u32_e64 s[36:37], v204, v36                       // 00000000BA54: D0C90024 000249CC
	v_add_u32_e32 v204, 8, v204                                // 00000000BA5C: 69999888
	s_nop 0                                                    // 00000000BA60: BF800000
	v_cndmask_b32_e64 v56, v35, v56, s[36:37]                  // 00000000BA64: D1000038 00927123
	v_cmp_lt_u32_e64 s[36:37], v205, v36                       // 00000000BA6C: D0C90024 000249CD
	v_add_u32_e32 v205, 8, v205                                // 00000000BA74: 699B9A88
	s_nop 0                                                    // 00000000BA78: BF800000
	v_cndmask_b32_e64 v57, v35, v57, s[36:37]                  // 00000000BA7C: D1000039 00927323
	v_cmp_lt_u32_e64 s[36:37], v206, v36                       // 00000000BA84: D0C90024 000249CE
	v_add_u32_e32 v206, 8, v206                                // 00000000BA8C: 699D9C88
	s_nop 0                                                    // 00000000BA90: BF800000
	v_cndmask_b32_e64 v58, v35, v58, s[36:37]                  // 00000000BA94: D100003A 00927523
	v_cmp_lt_u32_e64 s[36:37], v207, v36                       // 00000000BA9C: D0C90024 000249CF
	v_add_u32_e32 v207, 8, v207                                // 00000000BAA4: 699F9E88
	s_nop 0                                                    // 00000000BAA8: BF800000
	v_cndmask_b32_e64 v59, v35, v59, s[36:37]                  // 00000000BAAC: D100003B 00927723
	s_nop 2                                                    // 00000000BAB4: BF800002
	v_mov_b32_e32 v213, v44                                    // 00000000BAB8: 7FAA032C
	v_max3_f32 v213, v44, v45, v213                            // 00000000BABC: D1D300D5 07565B2C
	v_max3_f32 v213, v46, v47, v213                            // 00000000BAC4: D1D300D5 07565F2E
	v_max3_f32 v213, v48, v49, v213                            // 00000000BACC: D1D300D5 07566330
	v_max3_f32 v213, v50, v51, v213                            // 00000000BAD4: D1D300D5 07566732
	v_max3_f32 v213, v52, v53, v213                            // 00000000BADC: D1D300D5 07566B34
	v_max3_f32 v213, v54, v55, v213                            // 00000000BAE4: D1D300D5 07566F36
	v_max3_f32 v213, v56, v57, v213                            // 00000000BAEC: D1D300D5 07567338
	v_max3_f32 v213, v58, v59, v213                            // 00000000BAF4: D1D300D5 0756773A
	v_mov_b32_e32 v35, v213                                    // 00000000BAFC: 7E4603D5
	v_mov_b32_e32 v36, v213                                    // 00000000BB00: 7E4803D5
	s_nop 1                                                    // 00000000BB04: BF800001
	v_permlane32_swap_b32_e32 v35, v36                         // 00000000BB08: 7E46B524
	v_max3_f32 v213, v35, v36, v213                            // 00000000BB0C: D1D300D5 07564923
	ds_write_b32 v41, v213                                     // 00000000BB14: D81A0000 0000D529
	s_waitcnt lgkmcnt(0)                                       // 00000000BB1C: BF8CC07F
	s_barrier                                                  // 00000000BB20: BF8A0000
	ds_read_b32 v35, v40                                       // 00000000BB24: D86C0000 23000028
	ds_read_b32 v36, v40 offset:256                            // 00000000BB2C: D86C0100 24000028
	s_waitcnt lgkmcnt(0)                                       // 00000000BB34: BF8CC07F
	v_max3_f32 v213, v35, v36, v213                            // 00000000BB38: D1D300D5 07564923
	v_mov_b32_e32 v35, 0xff800000                              // 00000000BB40: 7E4602FF FF800000
	v_cmp_eq_u32_e64 s[36:37], v35, v2                         // 00000000BB48: D0CA0024 00020523
	v_max_f32_e32 v216, v213, v2                               // 00000000BB50: 17B005D5
	v_sub_f32_e32 v21, v2, v216                                // 00000000BB54: 042BB102
	v_cndmask_b32_e64 v21, v21, 0, s[36:37]                    // 00000000BB58: D1000015 00910115
	v_mov_b32_e32 v2, v216                                     // 00000000BB60: 7E0403D8
	v_mul_f32_e32 v212, s5, v216                               // 00000000BB64: 0BA9B005
	v_mul_f32_e32 v21, s5, v21                                 // 00000000BB68: 0A2A2A05
	v_exp_f32_e32 v21, v21                                     // 00000000BB6C: 7E2A4115
	v_fma_f32 v44, v44, s5, -v212                              // 00000000BB70: D1CB002C 87500B2C
	v_fma_f32 v45, v45, s5, -v212                              // 00000000BB78: D1CB002D 87500B2D
	v_fma_f32 v46, v46, s5, -v212                              // 00000000BB80: D1CB002E 87500B2E
	v_fma_f32 v47, v47, s5, -v212                              // 00000000BB88: D1CB002F 87500B2F
	v_fma_f32 v48, v48, s5, -v212                              // 00000000BB90: D1CB0030 87500B30
	v_fma_f32 v49, v49, s5, -v212                              // 00000000BB98: D1CB0031 87500B31
	v_fma_f32 v50, v50, s5, -v212                              // 00000000BBA0: D1CB0032 87500B32
	v_fma_f32 v51, v51, s5, -v212                              // 00000000BBA8: D1CB0033 87500B33
	v_fma_f32 v52, v52, s5, -v212                              // 00000000BBB0: D1CB0034 87500B34
	v_fma_f32 v53, v53, s5, -v212                              // 00000000BBB8: D1CB0035 87500B35
	v_fma_f32 v54, v54, s5, -v212                              // 00000000BBC0: D1CB0036 87500B36
	v_fma_f32 v55, v55, s5, -v212                              // 00000000BBC8: D1CB0037 87500B37
	v_fma_f32 v56, v56, s5, -v212                              // 00000000BBD0: D1CB0038 87500B38
	v_fma_f32 v57, v57, s5, -v212                              // 00000000BBD8: D1CB0039 87500B39
	v_fma_f32 v58, v58, s5, -v212                              // 00000000BBE0: D1CB003A 87500B3A
	v_fma_f32 v59, v59, s5, -v212                              // 00000000BBE8: D1CB003B 87500B3B
	v_mov_b32_e32 v35, 0xffc00000                              // 00000000BBF0: 7E4602FF FFC00000
	v_exp_f32_e32 v44, v44                                     // 00000000BBF8: 7E58412C
	v_exp_f32_e32 v45, v45                                     // 00000000BBFC: 7E5A412D
	v_exp_f32_e32 v46, v46                                     // 00000000BC00: 7E5C412E
	v_exp_f32_e32 v47, v47                                     // 00000000BC04: 7E5E412F
	v_exp_f32_e32 v48, v48                                     // 00000000BC08: 7E604130
	v_exp_f32_e32 v49, v49                                     // 00000000BC0C: 7E624131
	v_exp_f32_e32 v50, v50                                     // 00000000BC10: 7E644132
	v_exp_f32_e32 v51, v51                                     // 00000000BC14: 7E664133
	v_exp_f32_e32 v52, v52                                     // 00000000BC18: 7E684134
	v_exp_f32_e32 v53, v53                                     // 00000000BC1C: 7E6A4135
	v_exp_f32_e32 v54, v54                                     // 00000000BC20: 7E6C4136
	v_exp_f32_e32 v55, v55                                     // 00000000BC24: 7E6E4137
	v_exp_f32_e32 v56, v56                                     // 00000000BC28: 7E704138
	v_exp_f32_e32 v57, v57                                     // 00000000BC2C: 7E724139
	v_exp_f32_e32 v58, v58                                     // 00000000BC30: 7E74413A
	v_exp_f32_e32 v59, v59                                     // 00000000BC34: 7E76413B
	v_mul_f32_e32 v4, v21, v4                                  // 00000000BC38: 0A080915
	v_mov_b32_e32 v35, v44                                     // 00000000BC3C: 7E46032C
	v_add_f32_e32 v35, v45, v35                                // 00000000BC40: 0246472D
	v_add_f32_e32 v35, v46, v35                                // 00000000BC44: 0246472E
	v_add_f32_e32 v35, v47, v35                                // 00000000BC48: 0246472F
	v_add_f32_e32 v35, v48, v35                                // 00000000BC4C: 02464730
	v_add_f32_e32 v35, v49, v35                                // 00000000BC50: 02464731
	v_add_f32_e32 v35, v50, v35                                // 00000000BC54: 02464732
	v_add_f32_e32 v35, v51, v35                                // 00000000BC58: 02464733
	v_add_f32_e32 v35, v52, v35                                // 00000000BC5C: 02464734
	v_add_f32_e32 v35, v53, v35                                // 00000000BC60: 02464735
	v_add_f32_e32 v35, v54, v35                                // 00000000BC64: 02464736
	v_add_f32_e32 v35, v55, v35                                // 00000000BC68: 02464737
	v_add_f32_e32 v35, v56, v35                                // 00000000BC6C: 02464738
	v_add_f32_e32 v35, v57, v35                                // 00000000BC70: 02464739
	v_add_f32_e32 v35, v58, v35                                // 00000000BC74: 0246473A
	v_add_f32_e32 v35, v59, v35                                // 00000000BC78: 0246473B
	v_add_f32_e32 v4, v35, v4                                  // 00000000BC7C: 02080923
	v_cvt_pk_fp8_f32 v44, v44, v45                             // 00000000BC80: D2A2002C 00025B2C
	v_cvt_pk_fp8_f32 v44, v46, v47 op_sel:[0,0,1]              // 00000000BC88: D2A2402C 00025F2E
	v_cvt_pk_fp8_f32 v45, v48, v49                             // 00000000BC90: D2A2002D 00026330
	v_cvt_pk_fp8_f32 v45, v50, v51 op_sel:[0,0,1]              // 00000000BC98: D2A2402D 00026732
	v_cvt_pk_fp8_f32 v46, v52, v53                             // 00000000BCA0: D2A2002E 00026B34
	v_cvt_pk_fp8_f32 v46, v54, v55 op_sel:[0,0,1]              // 00000000BCA8: D2A2402E 00026F36
	v_cvt_pk_fp8_f32 v47, v56, v57                             // 00000000BCB0: D2A2002F 00027338
	v_cvt_pk_fp8_f32 v47, v58, v59 op_sel:[0,0,1]              // 00000000BCB8: D2A2402F 0002773A
	ds_write_b128 v43, v[44:47] offset:1024                    // 00000000BCC0: D9BE0400 00002C2B
	s_waitcnt lgkmcnt(0)                                       // 00000000BCC8: BF8CC07F
	s_barrier                                                  // 00000000BCCC: BF8A0000
	ds_read_b128 v[44:47], v42 offset:1024                     // 00000000BCD0: D9FE0400 2C00002A
	ds_read_b128 v[48:51], v42 offset:2048                     // 00000000BCD8: D9FE0800 3000002A
	s_waitcnt lgkmcnt(0)                                       // 00000000BCE0: BF8CC07F
	v_permlane32_swap_b32_e32 v44, v46                         // 00000000BCE4: 7E58B52E
	v_permlane32_swap_b32_e32 v45, v47                         // 00000000BCE8: 7E5AB52F
	v_swap_b32 v45, v46                                        // 00000000BCEC: 7E5AA32E
	v_permlane32_swap_b32_e32 v48, v50                         // 00000000BCF0: 7E60B532
	v_permlane32_swap_b32_e32 v49, v51                         // 00000000BCF4: 7E62B533
	v_swap_b32 v49, v50                                        // 00000000BCF8: 7E62A332
	v_mov_b32_e32 v36, v21                                     // 00000000BCFC: 7E480315
	v_mov_b32_e32 v37, v21                                     // 00000000BD00: 7E4A0315
	v_pk_mul_f32 v[76:77], v[36:37], v[76:77]                  // 00000000BD04: D3B1404C 18029924
	v_pk_mul_f32 v[78:79], v[36:37], v[78:79]                  // 00000000BD0C: D3B1404E 18029D24
	v_pk_mul_f32 v[80:81], v[36:37], v[80:81]                  // 00000000BD14: D3B14050 1802A124
	v_pk_mul_f32 v[82:83], v[36:37], v[82:83]                  // 00000000BD1C: D3B14052 1802A524
	v_pk_mul_f32 v[84:85], v[36:37], v[84:85]                  // 00000000BD24: D3B14054 1802A924
	v_pk_mul_f32 v[86:87], v[36:37], v[86:87]                  // 00000000BD2C: D3B14056 1802AD24
	v_pk_mul_f32 v[88:89], v[36:37], v[88:89]                  // 00000000BD34: D3B14058 1802B124
	v_pk_mul_f32 v[90:91], v[36:37], v[90:91]                  // 00000000BD3C: D3B1405A 1802B524
	v_pk_mul_f32 v[92:93], v[36:37], v[92:93]                  // 00000000BD44: D3B1405C 1802B924
	v_pk_mul_f32 v[94:95], v[36:37], v[94:95]                  // 00000000BD4C: D3B1405E 1802BD24
	v_pk_mul_f32 v[96:97], v[36:37], v[96:97]                  // 00000000BD54: D3B14060 1802C124
	v_pk_mul_f32 v[98:99], v[36:37], v[98:99]                  // 00000000BD5C: D3B14062 1802C524
	v_pk_mul_f32 v[100:101], v[36:37], v[100:101]              // 00000000BD64: D3B14064 1802C924
	v_pk_mul_f32 v[102:103], v[36:37], v[102:103]              // 00000000BD6C: D3B14066 1802CD24
	v_pk_mul_f32 v[104:105], v[36:37], v[104:105]              // 00000000BD74: D3B14068 1802D124
	v_pk_mul_f32 v[106:107], v[36:37], v[106:107]              // 00000000BD7C: D3B1406A 1802D524
	v_pk_mul_f32 v[108:109], v[36:37], v[108:109]              // 00000000BD84: D3B1406C 1802D924
	v_pk_mul_f32 v[110:111], v[36:37], v[110:111]              // 00000000BD8C: D3B1406E 1802DD24
	v_pk_mul_f32 v[112:113], v[36:37], v[112:113]              // 00000000BD94: D3B14070 1802E124
	v_pk_mul_f32 v[114:115], v[36:37], v[114:115]              // 00000000BD9C: D3B14072 1802E524
	v_pk_mul_f32 v[116:117], v[36:37], v[116:117]              // 00000000BDA4: D3B14074 1802E924
	v_pk_mul_f32 v[118:119], v[36:37], v[118:119]              // 00000000BDAC: D3B14076 1802ED24
	v_pk_mul_f32 v[120:121], v[36:37], v[120:121]              // 00000000BDB4: D3B14078 1802F124
	v_pk_mul_f32 v[122:123], v[36:37], v[122:123]              // 00000000BDBC: D3B1407A 1802F524
	v_pk_mul_f32 v[124:125], v[36:37], v[124:125]              // 00000000BDC4: D3B1407C 1802F924
	v_pk_mul_f32 v[126:127], v[36:37], v[126:127]              // 00000000BDCC: D3B1407E 1802FD24
	v_pk_mul_f32 v[128:129], v[36:37], v[128:129]              // 00000000BDD4: D3B14080 18030124
	v_pk_mul_f32 v[130:131], v[36:37], v[130:131]              // 00000000BDDC: D3B14082 18030524
	v_pk_mul_f32 v[132:133], v[36:37], v[132:133]              // 00000000BDE4: D3B14084 18030924
	v_pk_mul_f32 v[134:135], v[36:37], v[134:135]              // 00000000BDEC: D3B14086 18030D24
	v_pk_mul_f32 v[136:137], v[36:37], v[136:137]              // 00000000BDF4: D3B14088 18031124
	v_pk_mul_f32 v[138:139], v[36:37], v[138:139]              // 00000000BDFC: D3B1408A 18031524
	v_pk_mul_f32 v[140:141], v[36:37], v[140:141]              // 00000000BE04: D3B1408C 18031924
	v_pk_mul_f32 v[142:143], v[36:37], v[142:143]              // 00000000BE0C: D3B1408E 18031D24
	v_pk_mul_f32 v[144:145], v[36:37], v[144:145]              // 00000000BE14: D3B14090 18032124
	v_pk_mul_f32 v[146:147], v[36:37], v[146:147]              // 00000000BE1C: D3B14092 18032524
	v_pk_mul_f32 v[148:149], v[36:37], v[148:149]              // 00000000BE24: D3B14094 18032924
	v_pk_mul_f32 v[150:151], v[36:37], v[150:151]              // 00000000BE2C: D3B14096 18032D24
	v_pk_mul_f32 v[152:153], v[36:37], v[152:153]              // 00000000BE34: D3B14098 18033124
	v_pk_mul_f32 v[154:155], v[36:37], v[154:155]              // 00000000BE3C: D3B1409A 18033524
	v_pk_mul_f32 v[156:157], v[36:37], v[156:157]              // 00000000BE44: D3B1409C 18033924
	v_pk_mul_f32 v[158:159], v[36:37], v[158:159]              // 00000000BE4C: D3B1409E 18033D24
	v_pk_mul_f32 v[160:161], v[36:37], v[160:161]              // 00000000BE54: D3B140A0 18034124
	v_pk_mul_f32 v[162:163], v[36:37], v[162:163]              // 00000000BE5C: D3B140A2 18034524
	v_pk_mul_f32 v[164:165], v[36:37], v[164:165]              // 00000000BE64: D3B140A4 18034924
	v_pk_mul_f32 v[166:167], v[36:37], v[166:167]              // 00000000BE6C: D3B140A6 18034D24
	v_pk_mul_f32 v[168:169], v[36:37], v[168:169]              // 00000000BE74: D3B140A8 18035124
	v_pk_mul_f32 v[170:171], v[36:37], v[170:171]              // 00000000BE7C: D3B140AA 18035524
	v_pk_mul_f32 v[172:173], v[36:37], v[172:173]              // 00000000BE84: D3B140AC 18035924
	v_pk_mul_f32 v[174:175], v[36:37], v[174:175]              // 00000000BE8C: D3B140AE 18035D24
	v_pk_mul_f32 v[176:177], v[36:37], v[176:177]              // 00000000BE94: D3B140B0 18036124
	v_pk_mul_f32 v[178:179], v[36:37], v[178:179]              // 00000000BE9C: D3B140B2 18036524
	v_pk_mul_f32 v[180:181], v[36:37], v[180:181]              // 00000000BEA4: D3B140B4 18036924
	v_pk_mul_f32 v[182:183], v[36:37], v[182:183]              // 00000000BEAC: D3B140B6 18036D24
	v_pk_mul_f32 v[184:185], v[36:37], v[184:185]              // 00000000BEB4: D3B140B8 18037124
	v_pk_mul_f32 v[186:187], v[36:37], v[186:187]              // 00000000BEBC: D3B140BA 18037524
	v_pk_mul_f32 v[188:189], v[36:37], v[188:189]              // 00000000BEC4: D3B140BC 18037924
	v_pk_mul_f32 v[190:191], v[36:37], v[190:191]              // 00000000BECC: D3B140BE 18037D24
	v_pk_mul_f32 v[192:193], v[36:37], v[192:193]              // 00000000BED4: D3B140C0 18038124
	v_pk_mul_f32 v[194:195], v[36:37], v[194:195]              // 00000000BEDC: D3B140C2 18038524
	v_pk_mul_f32 v[196:197], v[36:37], v[196:197]              // 00000000BEE4: D3B140C4 18038924
	v_pk_mul_f32 v[198:199], v[36:37], v[198:199]              // 00000000BEEC: D3B140C6 18038D24
	v_pk_mul_f32 v[200:201], v[36:37], v[200:201]              // 00000000BEF4: D3B140C8 18039124
	v_pk_mul_f32 v[202:203], v[36:37], v[202:203]              // 00000000BEFC: D3B140CA 18039524
	v_mfma_f32_32x32x64_f8f6f4 v[76:91], a[72:79], v[44:51], v[76:91]// 00000000BF04: D3AE004C 0D325948
	v_mfma_f32_32x32x64_f8f6f4 v[92:107], a[80:87], v[44:51], v[92:107]// 00000000BF0C: D3AE005C 0D725950
	v_mfma_f32_32x32x64_f8f6f4 v[108:123], a[88:95], v[44:51], v[108:123]// 00000000BF14: D3AE006C 0DB25958
	v_mfma_f32_32x32x64_f8f6f4 v[124:139], a[96:103], v[44:51], v[124:139]// 00000000BF1C: D3AE007C 0DF25960
	v_mfma_f32_32x32x64_f8f6f4 v[140:155], a[104:111], v[44:51], v[140:155]// 00000000BF24: D3AE008C 0E325968
	v_mfma_f32_32x32x64_f8f6f4 v[156:171], a[112:119], v[44:51], v[156:171]// 00000000BF2C: D3AE009C 0E725970
	v_mfma_f32_32x32x64_f8f6f4 v[172:187], a[120:127], v[44:51], v[172:187]// 00000000BF34: D3AE00AC 0EB25978
	v_mfma_f32_32x32x64_f8f6f4 v[188:203], a[128:135], v[44:51], v[188:203]// 00000000BF3C: D3AE00BC 0EF25980
	s_nop 8                                                    // 00000000BF44: BF800008
	s_branch label_9C4C                                        // 00000000BF48: BF820000

000000000000bf4c <label_9C4C>:
	ds_write_b32 v41, v4                                       // 00000000BF4C: D81A0000 00000429
	s_waitcnt lgkmcnt(0)                                       // 00000000BF54: BF8CC07F
	s_barrier                                                  // 00000000BF58: BF8A0000
	ds_read_b32 v35, v40                                       // 00000000BF5C: D86C0000 23000028
	ds_read_b32 v37, v40 offset:256                            // 00000000BF64: D86C0100 25000028
	s_waitcnt lgkmcnt(0)                                       // 00000000BF6C: BF8CC07F
	v_mov_b32_e32 v36, v35                                     // 00000000BF70: 7E480323
	v_mov_b32_e32 v38, v37                                     // 00000000BF74: 7E4C0325
	s_nop 0                                                    // 00000000BF78: BF800000
	v_permlane32_swap_b32_e32 v35, v36                         // 00000000BF7C: 7E46B524
	v_permlane32_swap_b32_e32 v37, v38                         // 00000000BF80: 7E4AB526
	v_mov_b32_e32 v4, 0                                        // 00000000BF84: 7E080280
	v_add_f32_e32 v4, v35, v4                                  // 00000000BF88: 02080923
	v_add_f32_e32 v4, v36, v4                                  // 00000000BF8C: 02080924
	v_add_f32_e32 v4, v37, v4                                  // 00000000BF90: 02080925
	v_add_f32_e32 v4, v38, v4                                  // 00000000BF94: 02080926
	v_mov_b32_e32 v35, 0                                       // 00000000BF98: 7E460280
	v_cmp_eq_u32_e64 s[36:37], v35, v4                         // 00000000BF9C: D0CA0024 00020923
	v_mul_f32_e64 v35, v2, s64                                 // 00000000BFA4: D1050023 00008102
	v_log_f32_e32 v36, v4                                      // 00000000BFAC: 7E484304
	s_nop 1                                                    // 00000000BFB0: BF800001
	v_rcp_f32_e32 v4, v4                                       // 00000000BFB4: 7E084504
	s_nop 1                                                    // 00000000BFB8: BF800001
	v_fma_f32 v218, v36, s63, v35                              // 00000000BFBC: D1CB00DA 048C7F24
	v_mul_f32_e32 v4, s61, v4                                  // 00000000BFC4: 0A08083D
	v_mov_b32_e32 v44, v4                                      // 00000000BFC8: 7E580304
	v_mov_b32_e32 v45, v4                                      // 00000000BFCC: 7E5A0304
	v_pk_mul_f32 v[76:77], v[44:45], v[76:77]                  // 00000000BFD0: D3B1404C 1802992C
	v_pk_mul_f32 v[78:79], v[44:45], v[78:79]                  // 00000000BFD8: D3B1404E 18029D2C
	v_pk_mul_f32 v[80:81], v[44:45], v[80:81]                  // 00000000BFE0: D3B14050 1802A12C
	v_pk_mul_f32 v[82:83], v[44:45], v[82:83]                  // 00000000BFE8: D3B14052 1802A52C
	v_pk_mul_f32 v[84:85], v[44:45], v[84:85]                  // 00000000BFF0: D3B14054 1802A92C
	v_pk_mul_f32 v[86:87], v[44:45], v[86:87]                  // 00000000BFF8: D3B14056 1802AD2C
	v_pk_mul_f32 v[88:89], v[44:45], v[88:89]                  // 00000000C000: D3B14058 1802B12C
	v_pk_mul_f32 v[90:91], v[44:45], v[90:91]                  // 00000000C008: D3B1405A 1802B52C
	v_pk_mul_f32 v[92:93], v[44:45], v[92:93]                  // 00000000C010: D3B1405C 1802B92C
	v_pk_mul_f32 v[94:95], v[44:45], v[94:95]                  // 00000000C018: D3B1405E 1802BD2C
	v_pk_mul_f32 v[96:97], v[44:45], v[96:97]                  // 00000000C020: D3B14060 1802C12C
	v_pk_mul_f32 v[98:99], v[44:45], v[98:99]                  // 00000000C028: D3B14062 1802C52C
	v_pk_mul_f32 v[100:101], v[44:45], v[100:101]              // 00000000C030: D3B14064 1802C92C
	v_pk_mul_f32 v[102:103], v[44:45], v[102:103]              // 00000000C038: D3B14066 1802CD2C
	v_pk_mul_f32 v[104:105], v[44:45], v[104:105]              // 00000000C040: D3B14068 1802D12C
	v_pk_mul_f32 v[106:107], v[44:45], v[106:107]              // 00000000C048: D3B1406A 1802D52C
	v_pk_mul_f32 v[108:109], v[44:45], v[108:109]              // 00000000C050: D3B1406C 1802D92C
	v_pk_mul_f32 v[110:111], v[44:45], v[110:111]              // 00000000C058: D3B1406E 1802DD2C
	v_pk_mul_f32 v[112:113], v[44:45], v[112:113]              // 00000000C060: D3B14070 1802E12C
	v_pk_mul_f32 v[114:115], v[44:45], v[114:115]              // 00000000C068: D3B14072 1802E52C
	v_pk_mul_f32 v[116:117], v[44:45], v[116:117]              // 00000000C070: D3B14074 1802E92C
	v_pk_mul_f32 v[118:119], v[44:45], v[118:119]              // 00000000C078: D3B14076 1802ED2C
	v_pk_mul_f32 v[120:121], v[44:45], v[120:121]              // 00000000C080: D3B14078 1802F12C
	v_pk_mul_f32 v[122:123], v[44:45], v[122:123]              // 00000000C088: D3B1407A 1802F52C
	v_pk_mul_f32 v[124:125], v[44:45], v[124:125]              // 00000000C090: D3B1407C 1802F92C
	v_pk_mul_f32 v[126:127], v[44:45], v[126:127]              // 00000000C098: D3B1407E 1802FD2C
	v_pk_mul_f32 v[128:129], v[44:45], v[128:129]              // 00000000C0A0: D3B14080 1803012C
	v_pk_mul_f32 v[130:131], v[44:45], v[130:131]              // 00000000C0A8: D3B14082 1803052C
	v_pk_mul_f32 v[132:133], v[44:45], v[132:133]              // 00000000C0B0: D3B14084 1803092C
	v_pk_mul_f32 v[134:135], v[44:45], v[134:135]              // 00000000C0B8: D3B14086 18030D2C
	v_pk_mul_f32 v[136:137], v[44:45], v[136:137]              // 00000000C0C0: D3B14088 1803112C
	v_pk_mul_f32 v[138:139], v[44:45], v[138:139]              // 00000000C0C8: D3B1408A 1803152C
	v_pk_mul_f32 v[140:141], v[44:45], v[140:141]              // 00000000C0D0: D3B1408C 1803192C
	v_pk_mul_f32 v[142:143], v[44:45], v[142:143]              // 00000000C0D8: D3B1408E 18031D2C
	v_pk_mul_f32 v[144:145], v[44:45], v[144:145]              // 00000000C0E0: D3B14090 1803212C
	v_pk_mul_f32 v[146:147], v[44:45], v[146:147]              // 00000000C0E8: D3B14092 1803252C
	v_pk_mul_f32 v[148:149], v[44:45], v[148:149]              // 00000000C0F0: D3B14094 1803292C
	v_pk_mul_f32 v[150:151], v[44:45], v[150:151]              // 00000000C0F8: D3B14096 18032D2C
	v_pk_mul_f32 v[152:153], v[44:45], v[152:153]              // 00000000C100: D3B14098 1803312C
	v_pk_mul_f32 v[154:155], v[44:45], v[154:155]              // 00000000C108: D3B1409A 1803352C
	v_pk_mul_f32 v[156:157], v[44:45], v[156:157]              // 00000000C110: D3B1409C 1803392C
	v_pk_mul_f32 v[158:159], v[44:45], v[158:159]              // 00000000C118: D3B1409E 18033D2C
	v_pk_mul_f32 v[160:161], v[44:45], v[160:161]              // 00000000C120: D3B140A0 1803412C
	v_pk_mul_f32 v[162:163], v[44:45], v[162:163]              // 00000000C128: D3B140A2 1803452C
	v_pk_mul_f32 v[164:165], v[44:45], v[164:165]              // 00000000C130: D3B140A4 1803492C
	v_pk_mul_f32 v[166:167], v[44:45], v[166:167]              // 00000000C138: D3B140A6 18034D2C
	v_pk_mul_f32 v[168:169], v[44:45], v[168:169]              // 00000000C140: D3B140A8 1803512C
	v_pk_mul_f32 v[170:171], v[44:45], v[170:171]              // 00000000C148: D3B140AA 1803552C
	v_pk_mul_f32 v[172:173], v[44:45], v[172:173]              // 00000000C150: D3B140AC 1803592C
	v_pk_mul_f32 v[174:175], v[44:45], v[174:175]              // 00000000C158: D3B140AE 18035D2C
	v_pk_mul_f32 v[176:177], v[44:45], v[176:177]              // 00000000C160: D3B140B0 1803612C
	v_pk_mul_f32 v[178:179], v[44:45], v[178:179]              // 00000000C168: D3B140B2 1803652C
	v_pk_mul_f32 v[180:181], v[44:45], v[180:181]              // 00000000C170: D3B140B4 1803692C
	v_pk_mul_f32 v[182:183], v[44:45], v[182:183]              // 00000000C178: D3B140B6 18036D2C
	v_pk_mul_f32 v[184:185], v[44:45], v[184:185]              // 00000000C180: D3B140B8 1803712C
	v_pk_mul_f32 v[186:187], v[44:45], v[186:187]              // 00000000C188: D3B140BA 1803752C
	v_pk_mul_f32 v[188:189], v[44:45], v[188:189]              // 00000000C190: D3B140BC 1803792C
	v_pk_mul_f32 v[190:191], v[44:45], v[190:191]              // 00000000C198: D3B140BE 18037D2C
	v_pk_mul_f32 v[192:193], v[44:45], v[192:193]              // 00000000C1A0: D3B140C0 1803812C
	v_pk_mul_f32 v[194:195], v[44:45], v[194:195]              // 00000000C1A8: D3B140C2 1803852C
	v_pk_mul_f32 v[196:197], v[44:45], v[196:197]              // 00000000C1B0: D3B140C4 1803892C
	v_pk_mul_f32 v[198:199], v[44:45], v[198:199]              // 00000000C1B8: D3B140C6 18038D2C
	v_pk_mul_f32 v[200:201], v[44:45], v[200:201]              // 00000000C1C0: D3B140C8 1803912C
	v_pk_mul_f32 v[202:203], v[44:45], v[202:203]              // 00000000C1C8: D3B140CA 1803952C
	s_cmp_lt_i32 s87, 0                                        // 00000000C1D0: BF048057
	s_cbranch_scc1 label_A6CC                                  // 00000000C1D4: BF8501FD
	s_mul_i32 s75, 0x800, 16                                   // 00000000C1D8: 924B90FF 00000800
	s_mul_i32 s56, s87, s75                                    // 00000000C1E0: 92384B57
	s_add_u32 s8, s56, s8                                      // 00000000C1E4: 80080838
	s_addc_u32 s9, 0, s9                                       // 00000000C1E8: 82090980
	s_mul_i32 s56, s75, s81                                    // 00000000C1EC: 9238514B
	s_mov_b32 s10, s56                                         // 00000000C1F0: BE8A0038
	s_mov_b32 s57, 0x10000                                     // 00000000C1F4: BEB900FF 00010000
	s_lshr_b32 s56, s7, 1                                      // 00000000C1FC: 8F388107
	s_mul_i32 s56, s56, s57                                    // 00000000C200: 92383938
	s_mov_b32 s58, 0x400                                       // 00000000C204: BEBA00FF 00000400
	s_and_b32 s57, 1, s7                                       // 00000000C20C: 86390781
	s_mul_i32 s57, s57, s58                                    // 00000000C210: 92393A39
	s_add_u32 s56, s56, s57                                    // 00000000C214: 80383938
	v_lshrrev_b32_e32 v219, 2, v0                              // 00000000C218: 21B60082
	s_mov_b32 s57, 0x800                                       // 00000000C21C: BEB900FF 00000800
	v_mul_i32_i24_e32 v219, s57, v219                          // 00000000C224: 0DB7B639
	v_and_b32_e32 v35, 3, v0                                   // 00000000C228: 26460083
	v_lshlrev_b32_e32 v35, 4, v35                              // 00000000C22C: 24464684
	v_add_u32_e32 v219, v35, v219                              // 00000000C230: 69B7B723
	v_add_u32_e32 v219, s56, v219                              // 00000000C234: 69B7B638
	s_mov_b32 s57, 0x8000                                      // 00000000C238: BEB900FF 00008000
	v_add_u32_e32 v220, s57, v219                              // 00000000C240: 69B9B639
	s_mul_i32 s57, 4, 16                                       // 00000000C244: 92399084
	s_mul_i32 s56, s87, s57                                    // 00000000C248: 92383957
	s_add_u32 s12, s56, s12                                    // 00000000C24C: 800C0C38
	s_addc_u32 s13, 0, s13                                     // 00000000C250: 820D0D80
	s_mul_i32 s58, s57, s81                                    // 00000000C254: 923A5139
	s_mov_b32 s14, s58                                         // 00000000C258: BE8E003A
	v_and_b32_e32 v221, 31, v0                                 // 00000000C25C: 27BA009F
	v_lshlrev_b32_e32 v221, 2, v221                            // 00000000C260: 25BBBA82
	s_mul_i32 s58, 4, 32                                       // 00000000C264: 923AA084
	s_lshr_b32 s56, s7, 1                                      // 00000000C268: 8F388107
	s_mul_i32 s56, s56, s58                                    // 00000000C26C: 92383A38
	v_add_u32_e64 v221, v221, s56                              // 00000000C270: D13400DD 000071DD
	v_and_b32_e32 v35, 1, v0                                   // 00000000C278: 26460081
	v_lshlrev_b32_e32 v35, 5, v35                              // 00000000C27C: 24464685
	v_and_b32_e32 v36, 3, v0                                   // 00000000C280: 26480083
	v_lshrrev_b32_e32 v36, 1, v36                              // 00000000C284: 20484881
	v_lshlrev_b32_e32 v36, 4, v36                              // 00000000C288: 24484884
	v_add_u32_e32 v35, v35, v36                                // 00000000C28C: 68464923
	v_lshrrev_b32_e32 v36, 2, v0                               // 00000000C290: 20480082
	v_add_u32_e32 v35, v35, v36                                // 00000000C294: 68464923
	v_lshlrev_b32_e32 v35, 2, v35                              // 00000000C298: 24464682
	v_lshlrev_b32_e32 v37, 4, v0                               // 00000000C29C: 244A0084
	v_permlane16_swap_b32_e32 v76, v80                         // 00000000C2A0: 7E98B350
	v_permlane16_swap_b32_e32 v77, v81                         // 00000000C2A4: 7E9AB351
	v_permlane16_swap_b32_e32 v78, v82                         // 00000000C2A8: 7E9CB352
	v_permlane16_swap_b32_e32 v79, v83                         // 00000000C2AC: 7E9EB353
	ds_bpermute_b32 v44, v35, v76                              // 00000000C2B0: D87E0000 2C004C23
	ds_bpermute_b32 v45, v35, v77                              // 00000000C2B8: D87E0000 2D004D23
	ds_bpermute_b32 v46, v35, v78                              // 00000000C2C0: D87E0000 2E004E23
	ds_bpermute_b32 v47, v35, v79                              // 00000000C2C8: D87E0000 2F004F23
	ds_bpermute_b32 v48, v35, v80                              // 00000000C2D0: D87E0000 30005023
	ds_bpermute_b32 v49, v35, v81                              // 00000000C2D8: D87E0000 31005123
	ds_bpermute_b32 v50, v35, v82                              // 00000000C2E0: D87E0000 32005223
	ds_bpermute_b32 v51, v35, v83                              // 00000000C2E8: D87E0000 33005323
	v_permlane16_swap_b32_e32 v84, v88                         // 00000000C2F0: 7EA8B358
	v_permlane16_swap_b32_e32 v85, v89                         // 00000000C2F4: 7EAAB359
	v_permlane16_swap_b32_e32 v86, v90                         // 00000000C2F8: 7EACB35A
	v_permlane16_swap_b32_e32 v87, v91                         // 00000000C2FC: 7EAEB35B
	ds_bpermute_b32 v52, v35, v84                              // 00000000C300: D87E0000 34005423
	ds_bpermute_b32 v53, v35, v85                              // 00000000C308: D87E0000 35005523
	ds_bpermute_b32 v54, v35, v86                              // 00000000C310: D87E0000 36005623
	ds_bpermute_b32 v55, v35, v87                              // 00000000C318: D87E0000 37005723
	ds_bpermute_b32 v56, v35, v88                              // 00000000C320: D87E0000 38005823
	ds_bpermute_b32 v57, v35, v89                              // 00000000C328: D87E0000 39005923
	ds_bpermute_b32 v58, v35, v90                              // 00000000C330: D87E0000 3A005A23
	ds_bpermute_b32 v59, v35, v91                              // 00000000C338: D87E0000 3B005B23
	s_waitcnt lgkmcnt(12)                                      // 00000000C340: BF8CCC7F
	buffer_store_dwordx4 v[44:47], v219, s[8:11], 0 offen      // 00000000C344: E07C1000 80022CDB
	s_waitcnt lgkmcnt(8)                                       // 00000000C34C: BF8CC87F
	buffer_store_dwordx4 v[48:51], v220, s[8:11], 0 offen      // 00000000C350: E07C1000 800230DC
	s_mov_b32 s56, 64                                          // 00000000C358: BEB800C0
	v_add_u32_e32 v219, s56, v219                              // 00000000C35C: 69B7B638
	v_add_u32_e32 v220, s56, v220                              // 00000000C360: 69B9B838
	s_waitcnt lgkmcnt(4)                                       // 00000000C364: BF8CC47F
	buffer_store_dwordx4 v[52:55], v219, s[8:11], 0 offen      // 00000000C368: E07C1000 800234DB
	s_waitcnt lgkmcnt(0)                                       // 00000000C370: BF8CC07F
	buffer_store_dwordx4 v[56:59], v220, s[8:11], 0 offen      // 00000000C374: E07C1000 800238DC
	v_add_u32_e32 v219, s56, v219                              // 00000000C37C: 69B7B638
	v_add_u32_e32 v220, s56, v220                              // 00000000C380: 69B9B838
	v_permlane16_swap_b32_e32 v92, v96                         // 00000000C384: 7EB8B360
	v_permlane16_swap_b32_e32 v93, v97                         // 00000000C388: 7EBAB361
	v_permlane16_swap_b32_e32 v94, v98                         // 00000000C38C: 7EBCB362
	v_permlane16_swap_b32_e32 v95, v99                         // 00000000C390: 7EBEB363
	ds_bpermute_b32 v44, v35, v92                              // 00000000C394: D87E0000 2C005C23
	ds_bpermute_b32 v45, v35, v93                              // 00000000C39C: D87E0000 2D005D23
	ds_bpermute_b32 v46, v35, v94                              // 00000000C3A4: D87E0000 2E005E23
	ds_bpermute_b32 v47, v35, v95                              // 00000000C3AC: D87E0000 2F005F23
	ds_bpermute_b32 v48, v35, v96                              // 00000000C3B4: D87E0000 30006023
	ds_bpermute_b32 v49, v35, v97                              // 00000000C3BC: D87E0000 31006123
	ds_bpermute_b32 v50, v35, v98                              // 00000000C3C4: D87E0000 32006223
	ds_bpermute_b32 v51, v35, v99                              // 00000000C3CC: D87E0000 33006323
	v_permlane16_swap_b32_e32 v100, v104                       // 00000000C3D4: 7EC8B368
	v_permlane16_swap_b32_e32 v101, v105                       // 00000000C3D8: 7ECAB369
	v_permlane16_swap_b32_e32 v102, v106                       // 00000000C3DC: 7ECCB36A
	v_permlane16_swap_b32_e32 v103, v107                       // 00000000C3E0: 7ECEB36B
	ds_bpermute_b32 v52, v35, v100                             // 00000000C3E4: D87E0000 34006423
	ds_bpermute_b32 v53, v35, v101                             // 00000000C3EC: D87E0000 35006523
	ds_bpermute_b32 v54, v35, v102                             // 00000000C3F4: D87E0000 36006623
	ds_bpermute_b32 v55, v35, v103                             // 00000000C3FC: D87E0000 37006723
	ds_bpermute_b32 v56, v35, v104                             // 00000000C404: D87E0000 38006823
	ds_bpermute_b32 v57, v35, v105                             // 00000000C40C: D87E0000 39006923
	ds_bpermute_b32 v58, v35, v106                             // 00000000C414: D87E0000 3A006A23
	ds_bpermute_b32 v59, v35, v107                             // 00000000C41C: D87E0000 3B006B23
	s_waitcnt lgkmcnt(12)                                      // 00000000C424: BF8CCC7F
	buffer_store_dwordx4 v[44:47], v219, s[8:11], 0 offen      // 00000000C428: E07C1000 80022CDB
	s_waitcnt lgkmcnt(8)                                       // 00000000C430: BF8CC87F
	buffer_store_dwordx4 v[48:51], v220, s[8:11], 0 offen      // 00000000C434: E07C1000 800230DC
	s_mov_b32 s56, 64                                          // 00000000C43C: BEB800C0
	v_add_u32_e32 v219, s56, v219                              // 00000000C440: 69B7B638
	v_add_u32_e32 v220, s56, v220                              // 00000000C444: 69B9B838
	s_waitcnt lgkmcnt(4)                                       // 00000000C448: BF8CC47F
	buffer_store_dwordx4 v[52:55], v219, s[8:11], 0 offen      // 00000000C44C: E07C1000 800234DB
	s_waitcnt lgkmcnt(0)                                       // 00000000C454: BF8CC07F
	buffer_store_dwordx4 v[56:59], v220, s[8:11], 0 offen      // 00000000C458: E07C1000 800238DC
	v_add_u32_e32 v219, s56, v219                              // 00000000C460: 69B7B638
	v_add_u32_e32 v220, s56, v220                              // 00000000C464: 69B9B838
	v_permlane16_swap_b32_e32 v108, v112                       // 00000000C468: 7ED8B370
	v_permlane16_swap_b32_e32 v109, v113                       // 00000000C46C: 7EDAB371
	v_permlane16_swap_b32_e32 v110, v114                       // 00000000C470: 7EDCB372
	v_permlane16_swap_b32_e32 v111, v115                       // 00000000C474: 7EDEB373
	ds_bpermute_b32 v44, v35, v108                             // 00000000C478: D87E0000 2C006C23
	ds_bpermute_b32 v45, v35, v109                             // 00000000C480: D87E0000 2D006D23
	ds_bpermute_b32 v46, v35, v110                             // 00000000C488: D87E0000 2E006E23
	ds_bpermute_b32 v47, v35, v111                             // 00000000C490: D87E0000 2F006F23
	ds_bpermute_b32 v48, v35, v112                             // 00000000C498: D87E0000 30007023
	ds_bpermute_b32 v49, v35, v113                             // 00000000C4A0: D87E0000 31007123
	ds_bpermute_b32 v50, v35, v114                             // 00000000C4A8: D87E0000 32007223
	ds_bpermute_b32 v51, v35, v115                             // 00000000C4B0: D87E0000 33007323
	v_permlane16_swap_b32_e32 v116, v120                       // 00000000C4B8: 7EE8B378
	v_permlane16_swap_b32_e32 v117, v121                       // 00000000C4BC: 7EEAB379
	v_permlane16_swap_b32_e32 v118, v122                       // 00000000C4C0: 7EECB37A
	v_permlane16_swap_b32_e32 v119, v123                       // 00000000C4C4: 7EEEB37B
	ds_bpermute_b32 v52, v35, v116                             // 00000000C4C8: D87E0000 34007423
	ds_bpermute_b32 v53, v35, v117                             // 00000000C4D0: D87E0000 35007523
	ds_bpermute_b32 v54, v35, v118                             // 00000000C4D8: D87E0000 36007623
	ds_bpermute_b32 v55, v35, v119                             // 00000000C4E0: D87E0000 37007723
	ds_bpermute_b32 v56, v35, v120                             // 00000000C4E8: D87E0000 38007823
	ds_bpermute_b32 v57, v35, v121                             // 00000000C4F0: D87E0000 39007923
	ds_bpermute_b32 v58, v35, v122                             // 00000000C4F8: D87E0000 3A007A23
	ds_bpermute_b32 v59, v35, v123                             // 00000000C500: D87E0000 3B007B23
	s_waitcnt lgkmcnt(12)                                      // 00000000C508: BF8CCC7F
	buffer_store_dwordx4 v[44:47], v219, s[8:11], 0 offen      // 00000000C50C: E07C1000 80022CDB
	s_waitcnt lgkmcnt(8)                                       // 00000000C514: BF8CC87F
	buffer_store_dwordx4 v[48:51], v220, s[8:11], 0 offen      // 00000000C518: E07C1000 800230DC
	s_mov_b32 s56, 64                                          // 00000000C520: BEB800C0
	v_add_u32_e32 v219, s56, v219                              // 00000000C524: 69B7B638
	v_add_u32_e32 v220, s56, v220                              // 00000000C528: 69B9B838
	s_waitcnt lgkmcnt(4)                                       // 00000000C52C: BF8CC47F
	buffer_store_dwordx4 v[52:55], v219, s[8:11], 0 offen      // 00000000C530: E07C1000 800234DB
	s_waitcnt lgkmcnt(0)                                       // 00000000C538: BF8CC07F
	buffer_store_dwordx4 v[56:59], v220, s[8:11], 0 offen      // 00000000C53C: E07C1000 800238DC
	v_add_u32_e32 v219, s56, v219                              // 00000000C544: 69B7B638
	v_add_u32_e32 v220, s56, v220                              // 00000000C548: 69B9B838
	v_permlane16_swap_b32_e32 v124, v128                       // 00000000C54C: 7EF8B380
	v_permlane16_swap_b32_e32 v125, v129                       // 00000000C550: 7EFAB381
	v_permlane16_swap_b32_e32 v126, v130                       // 00000000C554: 7EFCB382
	v_permlane16_swap_b32_e32 v127, v131                       // 00000000C558: 7EFEB383
	ds_bpermute_b32 v44, v35, v124                             // 00000000C55C: D87E0000 2C007C23
	ds_bpermute_b32 v45, v35, v125                             // 00000000C564: D87E0000 2D007D23
	ds_bpermute_b32 v46, v35, v126                             // 00000000C56C: D87E0000 2E007E23
	ds_bpermute_b32 v47, v35, v127                             // 00000000C574: D87E0000 2F007F23
	ds_bpermute_b32 v48, v35, v128                             // 00000000C57C: D87E0000 30008023
	ds_bpermute_b32 v49, v35, v129                             // 00000000C584: D87E0000 31008123
	ds_bpermute_b32 v50, v35, v130                             // 00000000C58C: D87E0000 32008223
	ds_bpermute_b32 v51, v35, v131                             // 00000000C594: D87E0000 33008323
	v_permlane16_swap_b32_e32 v132, v136                       // 00000000C59C: 7F08B388
	v_permlane16_swap_b32_e32 v133, v137                       // 00000000C5A0: 7F0AB389
	v_permlane16_swap_b32_e32 v134, v138                       // 00000000C5A4: 7F0CB38A
	v_permlane16_swap_b32_e32 v135, v139                       // 00000000C5A8: 7F0EB38B
	ds_bpermute_b32 v52, v35, v132                             // 00000000C5AC: D87E0000 34008423
	ds_bpermute_b32 v53, v35, v133                             // 00000000C5B4: D87E0000 35008523
	ds_bpermute_b32 v54, v35, v134                             // 00000000C5BC: D87E0000 36008623
	ds_bpermute_b32 v55, v35, v135                             // 00000000C5C4: D87E0000 37008723
	ds_bpermute_b32 v56, v35, v136                             // 00000000C5CC: D87E0000 38008823
	ds_bpermute_b32 v57, v35, v137                             // 00000000C5D4: D87E0000 39008923
	ds_bpermute_b32 v58, v35, v138                             // 00000000C5DC: D87E0000 3A008A23
	ds_bpermute_b32 v59, v35, v139                             // 00000000C5E4: D87E0000 3B008B23
	s_waitcnt lgkmcnt(12)                                      // 00000000C5EC: BF8CCC7F
	buffer_store_dwordx4 v[44:47], v219, s[8:11], 0 offen      // 00000000C5F0: E07C1000 80022CDB
	s_waitcnt lgkmcnt(8)                                       // 00000000C5F8: BF8CC87F
	buffer_store_dwordx4 v[48:51], v220, s[8:11], 0 offen      // 00000000C5FC: E07C1000 800230DC
	s_mov_b32 s56, 64                                          // 00000000C604: BEB800C0
	v_add_u32_e32 v219, s56, v219                              // 00000000C608: 69B7B638
	v_add_u32_e32 v220, s56, v220                              // 00000000C60C: 69B9B838
	s_waitcnt lgkmcnt(4)                                       // 00000000C610: BF8CC47F
	buffer_store_dwordx4 v[52:55], v219, s[8:11], 0 offen      // 00000000C614: E07C1000 800234DB
	s_waitcnt lgkmcnt(0)                                       // 00000000C61C: BF8CC07F
	buffer_store_dwordx4 v[56:59], v220, s[8:11], 0 offen      // 00000000C620: E07C1000 800238DC
	v_add_u32_e32 v219, s56, v219                              // 00000000C628: 69B7B638
	v_add_u32_e32 v220, s56, v220                              // 00000000C62C: 69B9B838
	v_permlane16_swap_b32_e32 v140, v144                       // 00000000C630: 7F18B390
	v_permlane16_swap_b32_e32 v141, v145                       // 00000000C634: 7F1AB391
	v_permlane16_swap_b32_e32 v142, v146                       // 00000000C638: 7F1CB392
	v_permlane16_swap_b32_e32 v143, v147                       // 00000000C63C: 7F1EB393
	ds_bpermute_b32 v44, v35, v140                             // 00000000C640: D87E0000 2C008C23
	ds_bpermute_b32 v45, v35, v141                             // 00000000C648: D87E0000 2D008D23
	ds_bpermute_b32 v46, v35, v142                             // 00000000C650: D87E0000 2E008E23
	ds_bpermute_b32 v47, v35, v143                             // 00000000C658: D87E0000 2F008F23
	ds_bpermute_b32 v48, v35, v144                             // 00000000C660: D87E0000 30009023
	ds_bpermute_b32 v49, v35, v145                             // 00000000C668: D87E0000 31009123
	ds_bpermute_b32 v50, v35, v146                             // 00000000C670: D87E0000 32009223
	ds_bpermute_b32 v51, v35, v147                             // 00000000C678: D87E0000 33009323
	v_permlane16_swap_b32_e32 v148, v152                       // 00000000C680: 7F28B398
	v_permlane16_swap_b32_e32 v149, v153                       // 00000000C684: 7F2AB399
	v_permlane16_swap_b32_e32 v150, v154                       // 00000000C688: 7F2CB39A
	v_permlane16_swap_b32_e32 v151, v155                       // 00000000C68C: 7F2EB39B
	ds_bpermute_b32 v52, v35, v148                             // 00000000C690: D87E0000 34009423
	ds_bpermute_b32 v53, v35, v149                             // 00000000C698: D87E0000 35009523
	ds_bpermute_b32 v54, v35, v150                             // 00000000C6A0: D87E0000 36009623
	ds_bpermute_b32 v55, v35, v151                             // 00000000C6A8: D87E0000 37009723
	ds_bpermute_b32 v56, v35, v152                             // 00000000C6B0: D87E0000 38009823
	ds_bpermute_b32 v57, v35, v153                             // 00000000C6B8: D87E0000 39009923
	ds_bpermute_b32 v58, v35, v154                             // 00000000C6C0: D87E0000 3A009A23
	ds_bpermute_b32 v59, v35, v155                             // 00000000C6C8: D87E0000 3B009B23
	s_waitcnt lgkmcnt(12)                                      // 00000000C6D0: BF8CCC7F
	buffer_store_dwordx4 v[44:47], v219, s[8:11], 0 offen      // 00000000C6D4: E07C1000 80022CDB
	s_waitcnt lgkmcnt(8)                                       // 00000000C6DC: BF8CC87F
	buffer_store_dwordx4 v[48:51], v220, s[8:11], 0 offen      // 00000000C6E0: E07C1000 800230DC
	s_mov_b32 s56, 64                                          // 00000000C6E8: BEB800C0
	v_add_u32_e32 v219, s56, v219                              // 00000000C6EC: 69B7B638
	v_add_u32_e32 v220, s56, v220                              // 00000000C6F0: 69B9B838
	s_waitcnt lgkmcnt(4)                                       // 00000000C6F4: BF8CC47F
	buffer_store_dwordx4 v[52:55], v219, s[8:11], 0 offen      // 00000000C6F8: E07C1000 800234DB
	s_waitcnt lgkmcnt(0)                                       // 00000000C700: BF8CC07F
	buffer_store_dwordx4 v[56:59], v220, s[8:11], 0 offen      // 00000000C704: E07C1000 800238DC
	v_add_u32_e32 v219, s56, v219                              // 00000000C70C: 69B7B638
	v_add_u32_e32 v220, s56, v220                              // 00000000C710: 69B9B838
	v_permlane16_swap_b32_e32 v156, v160                       // 00000000C714: 7F38B3A0
	v_permlane16_swap_b32_e32 v157, v161                       // 00000000C718: 7F3AB3A1
	v_permlane16_swap_b32_e32 v158, v162                       // 00000000C71C: 7F3CB3A2
	v_permlane16_swap_b32_e32 v159, v163                       // 00000000C720: 7F3EB3A3
	ds_bpermute_b32 v44, v35, v156                             // 00000000C724: D87E0000 2C009C23
	ds_bpermute_b32 v45, v35, v157                             // 00000000C72C: D87E0000 2D009D23
	ds_bpermute_b32 v46, v35, v158                             // 00000000C734: D87E0000 2E009E23
	ds_bpermute_b32 v47, v35, v159                             // 00000000C73C: D87E0000 2F009F23
	ds_bpermute_b32 v48, v35, v160                             // 00000000C744: D87E0000 3000A023
	ds_bpermute_b32 v49, v35, v161                             // 00000000C74C: D87E0000 3100A123
	ds_bpermute_b32 v50, v35, v162                             // 00000000C754: D87E0000 3200A223
	ds_bpermute_b32 v51, v35, v163                             // 00000000C75C: D87E0000 3300A323
	v_permlane16_swap_b32_e32 v164, v168                       // 00000000C764: 7F48B3A8
	v_permlane16_swap_b32_e32 v165, v169                       // 00000000C768: 7F4AB3A9
	v_permlane16_swap_b32_e32 v166, v170                       // 00000000C76C: 7F4CB3AA
	v_permlane16_swap_b32_e32 v167, v171                       // 00000000C770: 7F4EB3AB
	ds_bpermute_b32 v52, v35, v164                             // 00000000C774: D87E0000 3400A423
	ds_bpermute_b32 v53, v35, v165                             // 00000000C77C: D87E0000 3500A523
	ds_bpermute_b32 v54, v35, v166                             // 00000000C784: D87E0000 3600A623
	ds_bpermute_b32 v55, v35, v167                             // 00000000C78C: D87E0000 3700A723
	ds_bpermute_b32 v56, v35, v168                             // 00000000C794: D87E0000 3800A823
	ds_bpermute_b32 v57, v35, v169                             // 00000000C79C: D87E0000 3900A923
	ds_bpermute_b32 v58, v35, v170                             // 00000000C7A4: D87E0000 3A00AA23
	ds_bpermute_b32 v59, v35, v171                             // 00000000C7AC: D87E0000 3B00AB23
	s_waitcnt lgkmcnt(12)                                      // 00000000C7B4: BF8CCC7F
	buffer_store_dwordx4 v[44:47], v219, s[8:11], 0 offen      // 00000000C7B8: E07C1000 80022CDB
	s_waitcnt lgkmcnt(8)                                       // 00000000C7C0: BF8CC87F
	buffer_store_dwordx4 v[48:51], v220, s[8:11], 0 offen      // 00000000C7C4: E07C1000 800230DC
	s_mov_b32 s56, 64                                          // 00000000C7CC: BEB800C0
	v_add_u32_e32 v219, s56, v219                              // 00000000C7D0: 69B7B638
	v_add_u32_e32 v220, s56, v220                              // 00000000C7D4: 69B9B838
	s_waitcnt lgkmcnt(4)                                       // 00000000C7D8: BF8CC47F
	buffer_store_dwordx4 v[52:55], v219, s[8:11], 0 offen      // 00000000C7DC: E07C1000 800234DB
	s_waitcnt lgkmcnt(0)                                       // 00000000C7E4: BF8CC07F
	buffer_store_dwordx4 v[56:59], v220, s[8:11], 0 offen      // 00000000C7E8: E07C1000 800238DC
	v_add_u32_e32 v219, s56, v219                              // 00000000C7F0: 69B7B638
	v_add_u32_e32 v220, s56, v220                              // 00000000C7F4: 69B9B838
	v_permlane16_swap_b32_e32 v172, v176                       // 00000000C7F8: 7F58B3B0
	v_permlane16_swap_b32_e32 v173, v177                       // 00000000C7FC: 7F5AB3B1
	v_permlane16_swap_b32_e32 v174, v178                       // 00000000C800: 7F5CB3B2
	v_permlane16_swap_b32_e32 v175, v179                       // 00000000C804: 7F5EB3B3
	ds_bpermute_b32 v44, v35, v172                             // 00000000C808: D87E0000 2C00AC23
	ds_bpermute_b32 v45, v35, v173                             // 00000000C810: D87E0000 2D00AD23
	ds_bpermute_b32 v46, v35, v174                             // 00000000C818: D87E0000 2E00AE23
	ds_bpermute_b32 v47, v35, v175                             // 00000000C820: D87E0000 2F00AF23
	ds_bpermute_b32 v48, v35, v176                             // 00000000C828: D87E0000 3000B023
	ds_bpermute_b32 v49, v35, v177                             // 00000000C830: D87E0000 3100B123
	ds_bpermute_b32 v50, v35, v178                             // 00000000C838: D87E0000 3200B223
	ds_bpermute_b32 v51, v35, v179                             // 00000000C840: D87E0000 3300B323
	v_permlane16_swap_b32_e32 v180, v184                       // 00000000C848: 7F68B3B8
	v_permlane16_swap_b32_e32 v181, v185                       // 00000000C84C: 7F6AB3B9
	v_permlane16_swap_b32_e32 v182, v186                       // 00000000C850: 7F6CB3BA
	v_permlane16_swap_b32_e32 v183, v187                       // 00000000C854: 7F6EB3BB
	ds_bpermute_b32 v52, v35, v180                             // 00000000C858: D87E0000 3400B423
	ds_bpermute_b32 v53, v35, v181                             // 00000000C860: D87E0000 3500B523
	ds_bpermute_b32 v54, v35, v182                             // 00000000C868: D87E0000 3600B623
	ds_bpermute_b32 v55, v35, v183                             // 00000000C870: D87E0000 3700B723
	ds_bpermute_b32 v56, v35, v184                             // 00000000C878: D87E0000 3800B823
	ds_bpermute_b32 v57, v35, v185                             // 00000000C880: D87E0000 3900B923
	ds_bpermute_b32 v58, v35, v186                             // 00000000C888: D87E0000 3A00BA23
	ds_bpermute_b32 v59, v35, v187                             // 00000000C890: D87E0000 3B00BB23
	s_waitcnt lgkmcnt(12)                                      // 00000000C898: BF8CCC7F
	buffer_store_dwordx4 v[44:47], v219, s[8:11], 0 offen      // 00000000C89C: E07C1000 80022CDB
	s_waitcnt lgkmcnt(8)                                       // 00000000C8A4: BF8CC87F
	buffer_store_dwordx4 v[48:51], v220, s[8:11], 0 offen      // 00000000C8A8: E07C1000 800230DC
	s_mov_b32 s56, 64                                          // 00000000C8B0: BEB800C0
	v_add_u32_e32 v219, s56, v219                              // 00000000C8B4: 69B7B638
	v_add_u32_e32 v220, s56, v220                              // 00000000C8B8: 69B9B838
	s_waitcnt lgkmcnt(4)                                       // 00000000C8BC: BF8CC47F
	buffer_store_dwordx4 v[52:55], v219, s[8:11], 0 offen      // 00000000C8C0: E07C1000 800234DB
	s_waitcnt lgkmcnt(0)                                       // 00000000C8C8: BF8CC07F
	buffer_store_dwordx4 v[56:59], v220, s[8:11], 0 offen      // 00000000C8CC: E07C1000 800238DC
	v_add_u32_e32 v219, s56, v219                              // 00000000C8D4: 69B7B638
	v_add_u32_e32 v220, s56, v220                              // 00000000C8D8: 69B9B838
	v_permlane16_swap_b32_e32 v188, v192                       // 00000000C8DC: 7F78B3C0
	v_permlane16_swap_b32_e32 v189, v193                       // 00000000C8E0: 7F7AB3C1
	v_permlane16_swap_b32_e32 v190, v194                       // 00000000C8E4: 7F7CB3C2
	v_permlane16_swap_b32_e32 v191, v195                       // 00000000C8E8: 7F7EB3C3
	ds_bpermute_b32 v44, v35, v188                             // 00000000C8EC: D87E0000 2C00BC23
	ds_bpermute_b32 v45, v35, v189                             // 00000000C8F4: D87E0000 2D00BD23
	ds_bpermute_b32 v46, v35, v190                             // 00000000C8FC: D87E0000 2E00BE23
	ds_bpermute_b32 v47, v35, v191                             // 00000000C904: D87E0000 2F00BF23
	ds_bpermute_b32 v48, v35, v192                             // 00000000C90C: D87E0000 3000C023
	ds_bpermute_b32 v49, v35, v193                             // 00000000C914: D87E0000 3100C123
	ds_bpermute_b32 v50, v35, v194                             // 00000000C91C: D87E0000 3200C223
	ds_bpermute_b32 v51, v35, v195                             // 00000000C924: D87E0000 3300C323
	v_permlane16_swap_b32_e32 v196, v200                       // 00000000C92C: 7F88B3C8
	v_permlane16_swap_b32_e32 v197, v201                       // 00000000C930: 7F8AB3C9
	v_permlane16_swap_b32_e32 v198, v202                       // 00000000C934: 7F8CB3CA
	v_permlane16_swap_b32_e32 v199, v203                       // 00000000C938: 7F8EB3CB
	ds_bpermute_b32 v52, v35, v196                             // 00000000C93C: D87E0000 3400C423
	ds_bpermute_b32 v53, v35, v197                             // 00000000C944: D87E0000 3500C523
	ds_bpermute_b32 v54, v35, v198                             // 00000000C94C: D87E0000 3600C623
	ds_bpermute_b32 v55, v35, v199                             // 00000000C954: D87E0000 3700C723
	ds_bpermute_b32 v56, v35, v200                             // 00000000C95C: D87E0000 3800C823
	ds_bpermute_b32 v57, v35, v201                             // 00000000C964: D87E0000 3900C923
	ds_bpermute_b32 v58, v35, v202                             // 00000000C96C: D87E0000 3A00CA23
	ds_bpermute_b32 v59, v35, v203                             // 00000000C974: D87E0000 3B00CB23
	s_waitcnt lgkmcnt(12)                                      // 00000000C97C: BF8CCC7F
	buffer_store_dwordx4 v[44:47], v219, s[8:11], 0 offen      // 00000000C980: E07C1000 80022CDB
	s_waitcnt lgkmcnt(8)                                       // 00000000C988: BF8CC87F
	buffer_store_dwordx4 v[48:51], v220, s[8:11], 0 offen      // 00000000C98C: E07C1000 800230DC
	s_mov_b32 s56, 64                                          // 00000000C994: BEB800C0
	v_add_u32_e32 v219, s56, v219                              // 00000000C998: 69B7B638
	v_add_u32_e32 v220, s56, v220                              // 00000000C99C: 69B9B838
	s_waitcnt lgkmcnt(4)                                       // 00000000C9A0: BF8CC47F
	buffer_store_dwordx4 v[52:55], v219, s[8:11], 0 offen      // 00000000C9A4: E07C1000 800234DB
	s_waitcnt lgkmcnt(0)                                       // 00000000C9AC: BF8CC07F
	buffer_store_dwordx4 v[56:59], v220, s[8:11], 0 offen      // 00000000C9B0: E07C1000 800238DC
	v_add_u32_e32 v219, s56, v219                              // 00000000C9B8: 69B7B638
	v_add_u32_e32 v220, s56, v220                              // 00000000C9BC: 69B9B838
	buffer_store_dword v218, v221, s[12:15], 0 offen           // 00000000C9C0: E0701000 8003DADD
	s_branch label_ADA4                                        // 00000000C9C8: BF8201B6

000000000000c9cc <label_A6CC>:
	s_mul_i32 s75, 0x400, 16                                   // 00000000C9CC: 924B90FF 00000400
	s_mov_b32 s56, s79                                         // 00000000C9D4: BEB8004F
	s_mul_i32 s56, s56, s75                                    // 00000000C9D8: 92384B38
	s_add_u32 s88, s56, s88                                    // 00000000C9DC: 80585838
	s_addc_u32 s89, 0, s89                                     // 00000000C9E0: 82595980
	s_mul_i32 s56, s75, s81                                    // 00000000C9E4: 9238514B
	s_mov_b32 s90, s56                                         // 00000000C9E8: BEDA0038
	s_mov_b32 s57, 0x8000                                      // 00000000C9EC: BEB900FF 00008000
	s_lshr_b32 s56, s7, 1                                      // 00000000C9F4: 8F388107
	s_mul_i32 s56, s56, s57                                    // 00000000C9F8: 92383938
	s_mov_b32 s58, 0x200                                       // 00000000C9FC: BEBA00FF 00000200
	s_and_b32 s57, 1, s7                                       // 00000000CA04: 86390781
	s_mul_i32 s57, s57, s58                                    // 00000000CA08: 92393A39
	s_add_u32 s56, s56, s57                                    // 00000000CA0C: 80383938
	v_lshrrev_b32_e32 v219, 2, v0                              // 00000000CA10: 21B60082
	s_mov_b32 s57, 0x400                                       // 00000000CA14: BEB900FF 00000400
	v_mul_i32_i24_e32 v219, s57, v219                          // 00000000CA1C: 0DB7B639
	v_and_b32_e32 v35, 3, v0                                   // 00000000CA20: 26460083
	v_lshlrev_b32_e32 v35, 4, v35                              // 00000000CA24: 24464684
	v_add_u32_e32 v219, v35, v219                              // 00000000CA28: 69B7B723
	v_add_u32_e32 v219, s56, v219                              // 00000000CA2C: 69B7B638
	s_mov_b32 s57, 0x4000                                      // 00000000CA30: BEB900FF 00004000
	v_add_u32_e32 v220, s57, v219                              // 00000000CA38: 69B9B639
	v_and_b32_e32 v35, 1, v0                                   // 00000000CA3C: 26460081
	v_lshlrev_b32_e32 v35, 5, v35                              // 00000000CA40: 24464685
	v_and_b32_e32 v36, 3, v0                                   // 00000000CA44: 26480083
	v_lshrrev_b32_e32 v36, 1, v36                              // 00000000CA48: 20484881
	v_lshlrev_b32_e32 v36, 4, v36                              // 00000000CA4C: 24484884
	v_add_u32_e32 v35, v35, v36                                // 00000000CA50: 68464923
	v_lshrrev_b32_e32 v36, 2, v0                               // 00000000CA54: 20480082
	v_add_u32_e32 v35, v35, v36                                // 00000000CA58: 68464923
	v_lshlrev_b32_e32 v35, 2, v35                              // 00000000CA5C: 24464682
	v_lshlrev_b32_e32 v37, 4, v0                               // 00000000CA60: 244A0084
	v_cvt_pk_bf16_f32 v76, v76, v77                            // 00000000CA64: D268004C 00029B4C
	v_cvt_pk_bf16_f32 v77, v78, v79                            // 00000000CA6C: D268004D 00029F4E
	v_cvt_pk_bf16_f32 v78, v80, v81                            // 00000000CA74: D268004E 0002A350
	v_cvt_pk_bf16_f32 v79, v82, v83                            // 00000000CA7C: D268004F 0002A752
	v_cvt_pk_bf16_f32 v80, v84, v85                            // 00000000CA84: D2680050 0002AB54
	v_cvt_pk_bf16_f32 v81, v86, v87                            // 00000000CA8C: D2680051 0002AF56
	v_cvt_pk_bf16_f32 v82, v88, v89                            // 00000000CA94: D2680052 0002B358
	v_cvt_pk_bf16_f32 v83, v90, v91                            // 00000000CA9C: D2680053 0002B75A
	v_permlane32_swap_b32_e32 v76, v78                         // 00000000CAA4: 7E98B54E
	v_permlane32_swap_b32_e32 v77, v79                         // 00000000CAA8: 7E9AB54F
	v_permlane32_swap_b32_e32 v80, v82                         // 00000000CAAC: 7EA0B552
	v_permlane32_swap_b32_e32 v81, v83                         // 00000000CAB0: 7EA2B553
	s_nop 1                                                    // 00000000CAB4: BF800001
	v_permlane16_swap_b32_e32 v76, v80                         // 00000000CAB8: 7E98B350
	v_permlane16_swap_b32_e32 v77, v81                         // 00000000CABC: 7E9AB351
	v_permlane16_swap_b32_e32 v78, v82                         // 00000000CAC0: 7E9CB352
	v_permlane16_swap_b32_e32 v79, v83                         // 00000000CAC4: 7E9EB353
	ds_bpermute_b32 v44, v35, v76                              // 00000000CAC8: D87E0000 2C004C23
	ds_bpermute_b32 v45, v35, v77                              // 00000000CAD0: D87E0000 2D004D23
	ds_bpermute_b32 v46, v35, v78                              // 00000000CAD8: D87E0000 2E004E23
	ds_bpermute_b32 v47, v35, v79                              // 00000000CAE0: D87E0000 2F004F23
	ds_bpermute_b32 v48, v35, v80                              // 00000000CAE8: D87E0000 30005023
	ds_bpermute_b32 v49, v35, v81                              // 00000000CAF0: D87E0000 31005123
	ds_bpermute_b32 v50, v35, v82                              // 00000000CAF8: D87E0000 32005223
	ds_bpermute_b32 v51, v35, v83                              // 00000000CB00: D87E0000 33005323
	s_waitcnt lgkmcnt(4)                                       // 00000000CB08: BF8CC47F
	buffer_store_dwordx4 v[44:47], v219, s[88:91], 0 offen     // 00000000CB0C: E07C1000 80162CDB
	s_mov_b32 s56, 64                                          // 00000000CB14: BEB800C0
	v_add_u32_e32 v219, s56, v219                              // 00000000CB18: 69B7B638
	s_waitcnt lgkmcnt(0)                                       // 00000000CB1C: BF8CC07F
	buffer_store_dwordx4 v[48:51], v220, s[88:91], 0 offen     // 00000000CB20: E07C1000 801630DC
	v_add_u32_e32 v220, s56, v220                              // 00000000CB28: 69B9B838
	v_cvt_pk_bf16_f32 v76, v92, v93                            // 00000000CB2C: D268004C 0002BB5C
	v_cvt_pk_bf16_f32 v77, v94, v95                            // 00000000CB34: D268004D 0002BF5E
	v_cvt_pk_bf16_f32 v78, v96, v97                            // 00000000CB3C: D268004E 0002C360
	v_cvt_pk_bf16_f32 v79, v98, v99                            // 00000000CB44: D268004F 0002C762
	v_cvt_pk_bf16_f32 v80, v100, v101                          // 00000000CB4C: D2680050 0002CB64
	v_cvt_pk_bf16_f32 v81, v102, v103                          // 00000000CB54: D2680051 0002CF66
	v_cvt_pk_bf16_f32 v82, v104, v105                          // 00000000CB5C: D2680052 0002D368
	v_cvt_pk_bf16_f32 v83, v106, v107                          // 00000000CB64: D2680053 0002D76A
	v_permlane32_swap_b32_e32 v76, v78                         // 00000000CB6C: 7E98B54E
	v_permlane32_swap_b32_e32 v77, v79                         // 00000000CB70: 7E9AB54F
	v_permlane32_swap_b32_e32 v80, v82                         // 00000000CB74: 7EA0B552
	v_permlane32_swap_b32_e32 v81, v83                         // 00000000CB78: 7EA2B553
	s_nop 1                                                    // 00000000CB7C: BF800001
	v_permlane16_swap_b32_e32 v76, v80                         // 00000000CB80: 7E98B350
	v_permlane16_swap_b32_e32 v77, v81                         // 00000000CB84: 7E9AB351
	v_permlane16_swap_b32_e32 v78, v82                         // 00000000CB88: 7E9CB352
	v_permlane16_swap_b32_e32 v79, v83                         // 00000000CB8C: 7E9EB353
	ds_bpermute_b32 v44, v35, v76                              // 00000000CB90: D87E0000 2C004C23
	ds_bpermute_b32 v45, v35, v77                              // 00000000CB98: D87E0000 2D004D23
	ds_bpermute_b32 v46, v35, v78                              // 00000000CBA0: D87E0000 2E004E23
	ds_bpermute_b32 v47, v35, v79                              // 00000000CBA8: D87E0000 2F004F23
	ds_bpermute_b32 v48, v35, v80                              // 00000000CBB0: D87E0000 30005023
	ds_bpermute_b32 v49, v35, v81                              // 00000000CBB8: D87E0000 31005123
	ds_bpermute_b32 v50, v35, v82                              // 00000000CBC0: D87E0000 32005223
	ds_bpermute_b32 v51, v35, v83                              // 00000000CBC8: D87E0000 33005323
	s_waitcnt lgkmcnt(4)                                       // 00000000CBD0: BF8CC47F
	buffer_store_dwordx4 v[44:47], v219, s[88:91], 0 offen     // 00000000CBD4: E07C1000 80162CDB
	s_mov_b32 s56, 64                                          // 00000000CBDC: BEB800C0
	v_add_u32_e32 v219, s56, v219                              // 00000000CBE0: 69B7B638
	s_waitcnt lgkmcnt(0)                                       // 00000000CBE4: BF8CC07F
	buffer_store_dwordx4 v[48:51], v220, s[88:91], 0 offen     // 00000000CBE8: E07C1000 801630DC
	v_add_u32_e32 v220, s56, v220                              // 00000000CBF0: 69B9B838
	v_cvt_pk_bf16_f32 v76, v108, v109                          // 00000000CBF4: D268004C 0002DB6C
	v_cvt_pk_bf16_f32 v77, v110, v111                          // 00000000CBFC: D268004D 0002DF6E
	v_cvt_pk_bf16_f32 v78, v112, v113                          // 00000000CC04: D268004E 0002E370
	v_cvt_pk_bf16_f32 v79, v114, v115                          // 00000000CC0C: D268004F 0002E772
	v_cvt_pk_bf16_f32 v80, v116, v117                          // 00000000CC14: D2680050 0002EB74
	v_cvt_pk_bf16_f32 v81, v118, v119                          // 00000000CC1C: D2680051 0002EF76
	v_cvt_pk_bf16_f32 v82, v120, v121                          // 00000000CC24: D2680052 0002F378
	v_cvt_pk_bf16_f32 v83, v122, v123                          // 00000000CC2C: D2680053 0002F77A
	v_permlane32_swap_b32_e32 v76, v78                         // 00000000CC34: 7E98B54E
	v_permlane32_swap_b32_e32 v77, v79                         // 00000000CC38: 7E9AB54F
	v_permlane32_swap_b32_e32 v80, v82                         // 00000000CC3C: 7EA0B552
	v_permlane32_swap_b32_e32 v81, v83                         // 00000000CC40: 7EA2B553
	s_nop 1                                                    // 00000000CC44: BF800001
	v_permlane16_swap_b32_e32 v76, v80                         // 00000000CC48: 7E98B350
	v_permlane16_swap_b32_e32 v77, v81                         // 00000000CC4C: 7E9AB351
	v_permlane16_swap_b32_e32 v78, v82                         // 00000000CC50: 7E9CB352
	v_permlane16_swap_b32_e32 v79, v83                         // 00000000CC54: 7E9EB353
	ds_bpermute_b32 v44, v35, v76                              // 00000000CC58: D87E0000 2C004C23
	ds_bpermute_b32 v45, v35, v77                              // 00000000CC60: D87E0000 2D004D23
	ds_bpermute_b32 v46, v35, v78                              // 00000000CC68: D87E0000 2E004E23
	ds_bpermute_b32 v47, v35, v79                              // 00000000CC70: D87E0000 2F004F23
	ds_bpermute_b32 v48, v35, v80                              // 00000000CC78: D87E0000 30005023
	ds_bpermute_b32 v49, v35, v81                              // 00000000CC80: D87E0000 31005123
	ds_bpermute_b32 v50, v35, v82                              // 00000000CC88: D87E0000 32005223
	ds_bpermute_b32 v51, v35, v83                              // 00000000CC90: D87E0000 33005323
	s_waitcnt lgkmcnt(4)                                       // 00000000CC98: BF8CC47F
	buffer_store_dwordx4 v[44:47], v219, s[88:91], 0 offen     // 00000000CC9C: E07C1000 80162CDB
	s_mov_b32 s56, 64                                          // 00000000CCA4: BEB800C0
	v_add_u32_e32 v219, s56, v219                              // 00000000CCA8: 69B7B638
	s_waitcnt lgkmcnt(0)                                       // 00000000CCAC: BF8CC07F
	buffer_store_dwordx4 v[48:51], v220, s[88:91], 0 offen     // 00000000CCB0: E07C1000 801630DC
	v_add_u32_e32 v220, s56, v220                              // 00000000CCB8: 69B9B838
	v_cvt_pk_bf16_f32 v76, v124, v125                          // 00000000CCBC: D268004C 0002FB7C
	v_cvt_pk_bf16_f32 v77, v126, v127                          // 00000000CCC4: D268004D 0002FF7E
	v_cvt_pk_bf16_f32 v78, v128, v129                          // 00000000CCCC: D268004E 00030380
	v_cvt_pk_bf16_f32 v79, v130, v131                          // 00000000CCD4: D268004F 00030782
	v_cvt_pk_bf16_f32 v80, v132, v133                          // 00000000CCDC: D2680050 00030B84
	v_cvt_pk_bf16_f32 v81, v134, v135                          // 00000000CCE4: D2680051 00030F86
	v_cvt_pk_bf16_f32 v82, v136, v137                          // 00000000CCEC: D2680052 00031388
	v_cvt_pk_bf16_f32 v83, v138, v139                          // 00000000CCF4: D2680053 0003178A
	v_permlane32_swap_b32_e32 v76, v78                         // 00000000CCFC: 7E98B54E
	v_permlane32_swap_b32_e32 v77, v79                         // 00000000CD00: 7E9AB54F
	v_permlane32_swap_b32_e32 v80, v82                         // 00000000CD04: 7EA0B552
	v_permlane32_swap_b32_e32 v81, v83                         // 00000000CD08: 7EA2B553
	s_nop 1                                                    // 00000000CD0C: BF800001
	v_permlane16_swap_b32_e32 v76, v80                         // 00000000CD10: 7E98B350
	v_permlane16_swap_b32_e32 v77, v81                         // 00000000CD14: 7E9AB351
	v_permlane16_swap_b32_e32 v78, v82                         // 00000000CD18: 7E9CB352
	v_permlane16_swap_b32_e32 v79, v83                         // 00000000CD1C: 7E9EB353
	ds_bpermute_b32 v44, v35, v76                              // 00000000CD20: D87E0000 2C004C23
	ds_bpermute_b32 v45, v35, v77                              // 00000000CD28: D87E0000 2D004D23
	ds_bpermute_b32 v46, v35, v78                              // 00000000CD30: D87E0000 2E004E23
	ds_bpermute_b32 v47, v35, v79                              // 00000000CD38: D87E0000 2F004F23
	ds_bpermute_b32 v48, v35, v80                              // 00000000CD40: D87E0000 30005023
	ds_bpermute_b32 v49, v35, v81                              // 00000000CD48: D87E0000 31005123
	ds_bpermute_b32 v50, v35, v82                              // 00000000CD50: D87E0000 32005223
	ds_bpermute_b32 v51, v35, v83                              // 00000000CD58: D87E0000 33005323
	s_waitcnt lgkmcnt(4)                                       // 00000000CD60: BF8CC47F
	buffer_store_dwordx4 v[44:47], v219, s[88:91], 0 offen     // 00000000CD64: E07C1000 80162CDB
	s_mov_b32 s56, 64                                          // 00000000CD6C: BEB800C0
	v_add_u32_e32 v219, s56, v219                              // 00000000CD70: 69B7B638
	s_waitcnt lgkmcnt(0)                                       // 00000000CD74: BF8CC07F
	buffer_store_dwordx4 v[48:51], v220, s[88:91], 0 offen     // 00000000CD78: E07C1000 801630DC
	v_add_u32_e32 v220, s56, v220                              // 00000000CD80: 69B9B838
	v_cvt_pk_bf16_f32 v76, v140, v141                          // 00000000CD84: D268004C 00031B8C
	v_cvt_pk_bf16_f32 v77, v142, v143                          // 00000000CD8C: D268004D 00031F8E
	v_cvt_pk_bf16_f32 v78, v144, v145                          // 00000000CD94: D268004E 00032390
	v_cvt_pk_bf16_f32 v79, v146, v147                          // 00000000CD9C: D268004F 00032792
	v_cvt_pk_bf16_f32 v80, v148, v149                          // 00000000CDA4: D2680050 00032B94
	v_cvt_pk_bf16_f32 v81, v150, v151                          // 00000000CDAC: D2680051 00032F96
	v_cvt_pk_bf16_f32 v82, v152, v153                          // 00000000CDB4: D2680052 00033398
	v_cvt_pk_bf16_f32 v83, v154, v155                          // 00000000CDBC: D2680053 0003379A
	v_permlane32_swap_b32_e32 v76, v78                         // 00000000CDC4: 7E98B54E
	v_permlane32_swap_b32_e32 v77, v79                         // 00000000CDC8: 7E9AB54F
	v_permlane32_swap_b32_e32 v80, v82                         // 00000000CDCC: 7EA0B552
	v_permlane32_swap_b32_e32 v81, v83                         // 00000000CDD0: 7EA2B553
	s_nop 1                                                    // 00000000CDD4: BF800001
	v_permlane16_swap_b32_e32 v76, v80                         // 00000000CDD8: 7E98B350
	v_permlane16_swap_b32_e32 v77, v81                         // 00000000CDDC: 7E9AB351
	v_permlane16_swap_b32_e32 v78, v82                         // 00000000CDE0: 7E9CB352
	v_permlane16_swap_b32_e32 v79, v83                         // 00000000CDE4: 7E9EB353
	ds_bpermute_b32 v44, v35, v76                              // 00000000CDE8: D87E0000 2C004C23
	ds_bpermute_b32 v45, v35, v77                              // 00000000CDF0: D87E0000 2D004D23
	ds_bpermute_b32 v46, v35, v78                              // 00000000CDF8: D87E0000 2E004E23
	ds_bpermute_b32 v47, v35, v79                              // 00000000CE00: D87E0000 2F004F23
	ds_bpermute_b32 v48, v35, v80                              // 00000000CE08: D87E0000 30005023
	ds_bpermute_b32 v49, v35, v81                              // 00000000CE10: D87E0000 31005123
	ds_bpermute_b32 v50, v35, v82                              // 00000000CE18: D87E0000 32005223
	ds_bpermute_b32 v51, v35, v83                              // 00000000CE20: D87E0000 33005323
	s_waitcnt lgkmcnt(4)                                       // 00000000CE28: BF8CC47F
	buffer_store_dwordx4 v[44:47], v219, s[88:91], 0 offen     // 00000000CE2C: E07C1000 80162CDB
	s_mov_b32 s56, 64                                          // 00000000CE34: BEB800C0
	v_add_u32_e32 v219, s56, v219                              // 00000000CE38: 69B7B638
	s_waitcnt lgkmcnt(0)                                       // 00000000CE3C: BF8CC07F
	buffer_store_dwordx4 v[48:51], v220, s[88:91], 0 offen     // 00000000CE40: E07C1000 801630DC
	v_add_u32_e32 v220, s56, v220                              // 00000000CE48: 69B9B838
	v_cvt_pk_bf16_f32 v76, v156, v157                          // 00000000CE4C: D268004C 00033B9C
	v_cvt_pk_bf16_f32 v77, v158, v159                          // 00000000CE54: D268004D 00033F9E
	v_cvt_pk_bf16_f32 v78, v160, v161                          // 00000000CE5C: D268004E 000343A0
	v_cvt_pk_bf16_f32 v79, v162, v163                          // 00000000CE64: D268004F 000347A2
	v_cvt_pk_bf16_f32 v80, v164, v165                          // 00000000CE6C: D2680050 00034BA4
	v_cvt_pk_bf16_f32 v81, v166, v167                          // 00000000CE74: D2680051 00034FA6
	v_cvt_pk_bf16_f32 v82, v168, v169                          // 00000000CE7C: D2680052 000353A8
	v_cvt_pk_bf16_f32 v83, v170, v171                          // 00000000CE84: D2680053 000357AA
	v_permlane32_swap_b32_e32 v76, v78                         // 00000000CE8C: 7E98B54E
	v_permlane32_swap_b32_e32 v77, v79                         // 00000000CE90: 7E9AB54F
	v_permlane32_swap_b32_e32 v80, v82                         // 00000000CE94: 7EA0B552
	v_permlane32_swap_b32_e32 v81, v83                         // 00000000CE98: 7EA2B553
	s_nop 1                                                    // 00000000CE9C: BF800001
	v_permlane16_swap_b32_e32 v76, v80                         // 00000000CEA0: 7E98B350
	v_permlane16_swap_b32_e32 v77, v81                         // 00000000CEA4: 7E9AB351
	v_permlane16_swap_b32_e32 v78, v82                         // 00000000CEA8: 7E9CB352
	v_permlane16_swap_b32_e32 v79, v83                         // 00000000CEAC: 7E9EB353
	ds_bpermute_b32 v44, v35, v76                              // 00000000CEB0: D87E0000 2C004C23
	ds_bpermute_b32 v45, v35, v77                              // 00000000CEB8: D87E0000 2D004D23
	ds_bpermute_b32 v46, v35, v78                              // 00000000CEC0: D87E0000 2E004E23
	ds_bpermute_b32 v47, v35, v79                              // 00000000CEC8: D87E0000 2F004F23
	ds_bpermute_b32 v48, v35, v80                              // 00000000CED0: D87E0000 30005023
	ds_bpermute_b32 v49, v35, v81                              // 00000000CED8: D87E0000 31005123
	ds_bpermute_b32 v50, v35, v82                              // 00000000CEE0: D87E0000 32005223
	ds_bpermute_b32 v51, v35, v83                              // 00000000CEE8: D87E0000 33005323
	s_waitcnt lgkmcnt(4)                                       // 00000000CEF0: BF8CC47F
	buffer_store_dwordx4 v[44:47], v219, s[88:91], 0 offen     // 00000000CEF4: E07C1000 80162CDB
	s_mov_b32 s56, 64                                          // 00000000CEFC: BEB800C0
	v_add_u32_e32 v219, s56, v219                              // 00000000CF00: 69B7B638
	s_waitcnt lgkmcnt(0)                                       // 00000000CF04: BF8CC07F
	buffer_store_dwordx4 v[48:51], v220, s[88:91], 0 offen     // 00000000CF08: E07C1000 801630DC
	v_add_u32_e32 v220, s56, v220                              // 00000000CF10: 69B9B838
	v_cvt_pk_bf16_f32 v76, v172, v173                          // 00000000CF14: D268004C 00035BAC
	v_cvt_pk_bf16_f32 v77, v174, v175                          // 00000000CF1C: D268004D 00035FAE
	v_cvt_pk_bf16_f32 v78, v176, v177                          // 00000000CF24: D268004E 000363B0
	v_cvt_pk_bf16_f32 v79, v178, v179                          // 00000000CF2C: D268004F 000367B2
	v_cvt_pk_bf16_f32 v80, v180, v181                          // 00000000CF34: D2680050 00036BB4
	v_cvt_pk_bf16_f32 v81, v182, v183                          // 00000000CF3C: D2680051 00036FB6
	v_cvt_pk_bf16_f32 v82, v184, v185                          // 00000000CF44: D2680052 000373B8
	v_cvt_pk_bf16_f32 v83, v186, v187                          // 00000000CF4C: D2680053 000377BA
	v_permlane32_swap_b32_e32 v76, v78                         // 00000000CF54: 7E98B54E
	v_permlane32_swap_b32_e32 v77, v79                         // 00000000CF58: 7E9AB54F
	v_permlane32_swap_b32_e32 v80, v82                         // 00000000CF5C: 7EA0B552
	v_permlane32_swap_b32_e32 v81, v83                         // 00000000CF60: 7EA2B553
	s_nop 1                                                    // 00000000CF64: BF800001
	v_permlane16_swap_b32_e32 v76, v80                         // 00000000CF68: 7E98B350
	v_permlane16_swap_b32_e32 v77, v81                         // 00000000CF6C: 7E9AB351
	v_permlane16_swap_b32_e32 v78, v82                         // 00000000CF70: 7E9CB352
	v_permlane16_swap_b32_e32 v79, v83                         // 00000000CF74: 7E9EB353
	ds_bpermute_b32 v44, v35, v76                              // 00000000CF78: D87E0000 2C004C23
	ds_bpermute_b32 v45, v35, v77                              // 00000000CF80: D87E0000 2D004D23
	ds_bpermute_b32 v46, v35, v78                              // 00000000CF88: D87E0000 2E004E23
	ds_bpermute_b32 v47, v35, v79                              // 00000000CF90: D87E0000 2F004F23
	ds_bpermute_b32 v48, v35, v80                              // 00000000CF98: D87E0000 30005023
	ds_bpermute_b32 v49, v35, v81                              // 00000000CFA0: D87E0000 31005123
	ds_bpermute_b32 v50, v35, v82                              // 00000000CFA8: D87E0000 32005223
	ds_bpermute_b32 v51, v35, v83                              // 00000000CFB0: D87E0000 33005323
	s_waitcnt lgkmcnt(4)                                       // 00000000CFB8: BF8CC47F
	buffer_store_dwordx4 v[44:47], v219, s[88:91], 0 offen     // 00000000CFBC: E07C1000 80162CDB
	s_mov_b32 s56, 64                                          // 00000000CFC4: BEB800C0
	v_add_u32_e32 v219, s56, v219                              // 00000000CFC8: 69B7B638
	s_waitcnt lgkmcnt(0)                                       // 00000000CFCC: BF8CC07F
	buffer_store_dwordx4 v[48:51], v220, s[88:91], 0 offen     // 00000000CFD0: E07C1000 801630DC
	v_add_u32_e32 v220, s56, v220                              // 00000000CFD8: 69B9B838
	v_cvt_pk_bf16_f32 v76, v188, v189                          // 00000000CFDC: D268004C 00037BBC
	v_cvt_pk_bf16_f32 v77, v190, v191                          // 00000000CFE4: D268004D 00037FBE
	v_cvt_pk_bf16_f32 v78, v192, v193                          // 00000000CFEC: D268004E 000383C0
	v_cvt_pk_bf16_f32 v79, v194, v195                          // 00000000CFF4: D268004F 000387C2
	v_cvt_pk_bf16_f32 v80, v196, v197                          // 00000000CFFC: D2680050 00038BC4
	v_cvt_pk_bf16_f32 v81, v198, v199                          // 00000000D004: D2680051 00038FC6
	v_cvt_pk_bf16_f32 v82, v200, v201                          // 00000000D00C: D2680052 000393C8
	v_cvt_pk_bf16_f32 v83, v202, v203                          // 00000000D014: D2680053 000397CA
	v_permlane32_swap_b32_e32 v76, v78                         // 00000000D01C: 7E98B54E
	v_permlane32_swap_b32_e32 v77, v79                         // 00000000D020: 7E9AB54F
	v_permlane32_swap_b32_e32 v80, v82                         // 00000000D024: 7EA0B552
	v_permlane32_swap_b32_e32 v81, v83                         // 00000000D028: 7EA2B553
	s_nop 1                                                    // 00000000D02C: BF800001
	v_permlane16_swap_b32_e32 v76, v80                         // 00000000D030: 7E98B350
	v_permlane16_swap_b32_e32 v77, v81                         // 00000000D034: 7E9AB351
	v_permlane16_swap_b32_e32 v78, v82                         // 00000000D038: 7E9CB352
	v_permlane16_swap_b32_e32 v79, v83                         // 00000000D03C: 7E9EB353
	ds_bpermute_b32 v44, v35, v76                              // 00000000D040: D87E0000 2C004C23
	ds_bpermute_b32 v45, v35, v77                              // 00000000D048: D87E0000 2D004D23
	ds_bpermute_b32 v46, v35, v78                              // 00000000D050: D87E0000 2E004E23
	ds_bpermute_b32 v47, v35, v79                              // 00000000D058: D87E0000 2F004F23
	ds_bpermute_b32 v48, v35, v80                              // 00000000D060: D87E0000 30005023
	ds_bpermute_b32 v49, v35, v81                              // 00000000D068: D87E0000 31005123
	ds_bpermute_b32 v50, v35, v82                              // 00000000D070: D87E0000 32005223
	ds_bpermute_b32 v51, v35, v83                              // 00000000D078: D87E0000 33005323
	s_waitcnt lgkmcnt(4)                                       // 00000000D080: BF8CC47F
	buffer_store_dwordx4 v[44:47], v219, s[88:91], 0 offen     // 00000000D084: E07C1000 80162CDB
	s_mov_b32 s56, 64                                          // 00000000D08C: BEB800C0
	v_add_u32_e32 v219, s56, v219                              // 00000000D090: 69B7B638
	s_waitcnt lgkmcnt(0)                                       // 00000000D094: BF8CC07F
	buffer_store_dwordx4 v[48:51], v220, s[88:91], 0 offen     // 00000000D098: E07C1000 801630DC
	v_add_u32_e32 v220, s56, v220                              // 00000000D0A0: 69B9B838

000000000000d0a4 <label_ADA4>:
	s_mov_b32 s56, 32                                          // 00000000D0A4: BEB800A0
	s_addk_i32 s85, 0x1                                        // 00000000D0A8: B7550001
	s_cmp_lt_i32 s85, s86                                      // 00000000D0AC: BF045655
	s_cbranch_scc1 label_00A4                                  // 00000000D0B0: BF85D4BC

000000000000d0b4 <label_ADB4>:
	s_waitcnt vmcnt(0) expcnt(0) lgkmcnt(0)                    // 00000000D0B4: BF8C0000
	s_endpgm                                                   // 00000000D0B8: BF810000
